;; amdgpu-corpus repo=ROCm/rocFFT kind=compiled arch=gfx950 opt=O3
	.text
	.amdgcn_target "amdgcn-amd-amdhsa--gfx950"
	.amdhsa_code_object_version 6
	.protected	fft_rtc_back_len924_factors_2_2_3_7_11_wgs_44_tpt_44_halfLds_sp_ip_CI_unitstride_sbrr_R2C_dirReg ; -- Begin function fft_rtc_back_len924_factors_2_2_3_7_11_wgs_44_tpt_44_halfLds_sp_ip_CI_unitstride_sbrr_R2C_dirReg
	.globl	fft_rtc_back_len924_factors_2_2_3_7_11_wgs_44_tpt_44_halfLds_sp_ip_CI_unitstride_sbrr_R2C_dirReg
	.p2align	8
	.type	fft_rtc_back_len924_factors_2_2_3_7_11_wgs_44_tpt_44_halfLds_sp_ip_CI_unitstride_sbrr_R2C_dirReg,@function
fft_rtc_back_len924_factors_2_2_3_7_11_wgs_44_tpt_44_halfLds_sp_ip_CI_unitstride_sbrr_R2C_dirReg: ; @fft_rtc_back_len924_factors_2_2_3_7_11_wgs_44_tpt_44_halfLds_sp_ip_CI_unitstride_sbrr_R2C_dirReg
; %bb.0:
	s_load_dwordx2 s[8:9], s[0:1], 0x50
	s_load_dwordx4 s[4:7], s[0:1], 0x0
	s_load_dwordx2 s[10:11], s[0:1], 0x18
	v_mul_u32_u24_e32 v1, 0x5d2, v0
	v_add_u32_sdwa v6, s2, v1 dst_sel:DWORD dst_unused:UNUSED_PAD src0_sel:DWORD src1_sel:WORD_1
	v_mov_b32_e32 v4, 0
	s_waitcnt lgkmcnt(0)
	v_cmp_lt_u64_e64 s[2:3], s[6:7], 2
	v_mov_b32_e32 v7, v4
	s_and_b64 vcc, exec, s[2:3]
	v_mov_b64_e32 v[2:3], 0
	s_cbranch_vccnz .LBB0_8
; %bb.1:
	s_load_dwordx2 s[2:3], s[0:1], 0x10
	s_add_u32 s12, s10, 8
	s_addc_u32 s13, s11, 0
	s_mov_b64 s[14:15], 1
	v_mov_b64_e32 v[2:3], 0
	s_waitcnt lgkmcnt(0)
	s_add_u32 s16, s2, 8
	s_addc_u32 s17, s3, 0
.LBB0_2:                                ; =>This Inner Loop Header: Depth=1
	s_load_dwordx2 s[18:19], s[16:17], 0x0
                                        ; implicit-def: $vgpr8_vgpr9
	s_waitcnt lgkmcnt(0)
	v_or_b32_e32 v5, s19, v7
	v_cmp_ne_u64_e32 vcc, 0, v[4:5]
	s_and_saveexec_b64 s[2:3], vcc
	s_xor_b64 s[20:21], exec, s[2:3]
	s_cbranch_execz .LBB0_4
; %bb.3:                                ;   in Loop: Header=BB0_2 Depth=1
	v_cvt_f32_u32_e32 v1, s18
	v_cvt_f32_u32_e32 v5, s19
	s_sub_u32 s2, 0, s18
	s_subb_u32 s3, 0, s19
	v_fmac_f32_e32 v1, 0x4f800000, v5
	v_rcp_f32_e32 v1, v1
	s_nop 0
	v_mul_f32_e32 v1, 0x5f7ffffc, v1
	v_mul_f32_e32 v5, 0x2f800000, v1
	v_trunc_f32_e32 v5, v5
	v_fmac_f32_e32 v1, 0xcf800000, v5
	v_cvt_u32_f32_e32 v5, v5
	v_cvt_u32_f32_e32 v1, v1
	v_mul_lo_u32 v8, s2, v5
	v_mul_hi_u32 v10, s2, v1
	v_mul_lo_u32 v9, s3, v1
	v_add_u32_e32 v10, v10, v8
	v_mul_lo_u32 v12, s2, v1
	v_add_u32_e32 v13, v10, v9
	v_mul_hi_u32 v8, v1, v12
	v_mul_hi_u32 v11, v1, v13
	v_mul_lo_u32 v10, v1, v13
	v_mov_b32_e32 v9, v4
	v_lshl_add_u64 v[8:9], v[8:9], 0, v[10:11]
	v_mul_hi_u32 v11, v5, v12
	v_mul_lo_u32 v12, v5, v12
	v_add_co_u32_e32 v8, vcc, v8, v12
	v_mul_hi_u32 v10, v5, v13
	s_nop 0
	v_addc_co_u32_e32 v8, vcc, v9, v11, vcc
	v_mov_b32_e32 v9, v4
	s_nop 0
	v_addc_co_u32_e32 v11, vcc, 0, v10, vcc
	v_mul_lo_u32 v10, v5, v13
	v_lshl_add_u64 v[8:9], v[8:9], 0, v[10:11]
	v_add_co_u32_e32 v1, vcc, v1, v8
	v_mul_lo_u32 v10, s2, v1
	s_nop 0
	v_addc_co_u32_e32 v5, vcc, v5, v9, vcc
	v_mul_lo_u32 v8, s2, v5
	v_mul_hi_u32 v9, s2, v1
	v_add_u32_e32 v8, v9, v8
	v_mul_lo_u32 v9, s3, v1
	v_add_u32_e32 v12, v8, v9
	v_mul_hi_u32 v14, v5, v10
	v_mul_lo_u32 v15, v5, v10
	v_mul_hi_u32 v9, v1, v12
	v_mul_lo_u32 v8, v1, v12
	v_mul_hi_u32 v10, v1, v10
	v_mov_b32_e32 v11, v4
	v_lshl_add_u64 v[8:9], v[10:11], 0, v[8:9]
	v_add_co_u32_e32 v8, vcc, v8, v15
	v_mul_hi_u32 v13, v5, v12
	s_nop 0
	v_addc_co_u32_e32 v8, vcc, v9, v14, vcc
	v_mul_lo_u32 v10, v5, v12
	s_nop 0
	v_addc_co_u32_e32 v11, vcc, 0, v13, vcc
	v_mov_b32_e32 v9, v4
	v_lshl_add_u64 v[8:9], v[8:9], 0, v[10:11]
	v_add_co_u32_e32 v1, vcc, v1, v8
	v_mul_hi_u32 v10, v6, v1
	s_nop 0
	v_addc_co_u32_e32 v5, vcc, v5, v9, vcc
	v_mad_u64_u32 v[8:9], s[2:3], v6, v5, 0
	v_mov_b32_e32 v11, v4
	v_lshl_add_u64 v[8:9], v[10:11], 0, v[8:9]
	v_mad_u64_u32 v[12:13], s[2:3], v7, v1, 0
	v_add_co_u32_e32 v1, vcc, v8, v12
	v_mad_u64_u32 v[10:11], s[2:3], v7, v5, 0
	s_nop 0
	v_addc_co_u32_e32 v8, vcc, v9, v13, vcc
	v_mov_b32_e32 v9, v4
	s_nop 0
	v_addc_co_u32_e32 v11, vcc, 0, v11, vcc
	v_lshl_add_u64 v[8:9], v[8:9], 0, v[10:11]
	v_mul_lo_u32 v1, s19, v8
	v_mul_lo_u32 v5, s18, v9
	v_mad_u64_u32 v[10:11], s[2:3], s18, v8, 0
	v_add3_u32 v1, v11, v5, v1
	v_sub_u32_e32 v5, v7, v1
	v_mov_b32_e32 v11, s19
	v_sub_co_u32_e32 v14, vcc, v6, v10
	v_lshl_add_u64 v[12:13], v[8:9], 0, 1
	s_nop 0
	v_subb_co_u32_e64 v5, s[2:3], v5, v11, vcc
	v_subrev_co_u32_e64 v10, s[2:3], s18, v14
	v_subb_co_u32_e32 v1, vcc, v7, v1, vcc
	s_nop 0
	v_subbrev_co_u32_e64 v5, s[2:3], 0, v5, s[2:3]
	v_cmp_le_u32_e64 s[2:3], s19, v5
	v_cmp_le_u32_e32 vcc, s19, v1
	s_nop 0
	v_cndmask_b32_e64 v11, 0, -1, s[2:3]
	v_cmp_le_u32_e64 s[2:3], s18, v10
	s_nop 1
	v_cndmask_b32_e64 v10, 0, -1, s[2:3]
	v_cmp_eq_u32_e64 s[2:3], s19, v5
	s_nop 1
	v_cndmask_b32_e64 v5, v11, v10, s[2:3]
	v_lshl_add_u64 v[10:11], v[8:9], 0, 2
	v_cmp_ne_u32_e64 s[2:3], 0, v5
	s_nop 1
	v_cndmask_b32_e64 v5, v13, v11, s[2:3]
	v_cndmask_b32_e64 v11, 0, -1, vcc
	v_cmp_le_u32_e32 vcc, s18, v14
	s_nop 1
	v_cndmask_b32_e64 v13, 0, -1, vcc
	v_cmp_eq_u32_e32 vcc, s19, v1
	s_nop 1
	v_cndmask_b32_e32 v1, v11, v13, vcc
	v_cmp_ne_u32_e32 vcc, 0, v1
	v_cndmask_b32_e64 v1, v12, v10, s[2:3]
	s_nop 0
	v_cndmask_b32_e32 v9, v9, v5, vcc
	v_cndmask_b32_e32 v8, v8, v1, vcc
.LBB0_4:                                ;   in Loop: Header=BB0_2 Depth=1
	s_andn2_saveexec_b64 s[2:3], s[20:21]
	s_cbranch_execz .LBB0_6
; %bb.5:                                ;   in Loop: Header=BB0_2 Depth=1
	v_cvt_f32_u32_e32 v1, s18
	s_sub_i32 s20, 0, s18
	v_rcp_iflag_f32_e32 v1, v1
	s_nop 0
	v_mul_f32_e32 v1, 0x4f7ffffe, v1
	v_cvt_u32_f32_e32 v1, v1
	v_mul_lo_u32 v5, s20, v1
	v_mul_hi_u32 v5, v1, v5
	v_add_u32_e32 v1, v1, v5
	v_mul_hi_u32 v1, v6, v1
	v_mul_lo_u32 v5, v1, s18
	v_sub_u32_e32 v5, v6, v5
	v_add_u32_e32 v8, 1, v1
	v_subrev_u32_e32 v9, s18, v5
	v_cmp_le_u32_e32 vcc, s18, v5
	s_nop 1
	v_cndmask_b32_e32 v5, v5, v9, vcc
	v_cndmask_b32_e32 v1, v1, v8, vcc
	v_add_u32_e32 v8, 1, v1
	v_cmp_le_u32_e32 vcc, s18, v5
	v_mov_b32_e32 v9, v4
	s_nop 0
	v_cndmask_b32_e32 v8, v1, v8, vcc
.LBB0_6:                                ;   in Loop: Header=BB0_2 Depth=1
	s_or_b64 exec, exec, s[2:3]
	v_mad_u64_u32 v[10:11], s[2:3], v8, s18, 0
	s_load_dwordx2 s[2:3], s[12:13], 0x0
	v_mul_lo_u32 v1, v9, s18
	v_mul_lo_u32 v5, v8, s19
	v_add3_u32 v1, v11, v5, v1
	v_sub_co_u32_e32 v5, vcc, v6, v10
	s_add_u32 s14, s14, 1
	s_nop 0
	v_subb_co_u32_e32 v1, vcc, v7, v1, vcc
	s_addc_u32 s15, s15, 0
	s_waitcnt lgkmcnt(0)
	v_mul_lo_u32 v1, s2, v1
	v_mul_lo_u32 v6, s3, v5
	v_mad_u64_u32 v[2:3], s[2:3], s2, v5, v[2:3]
	s_add_u32 s12, s12, 8
	v_add3_u32 v3, v6, v3, v1
	s_addc_u32 s13, s13, 0
	v_mov_b64_e32 v[6:7], s[6:7]
	s_add_u32 s16, s16, 8
	v_cmp_ge_u64_e32 vcc, s[14:15], v[6:7]
	s_addc_u32 s17, s17, 0
	s_cbranch_vccnz .LBB0_9
; %bb.7:                                ;   in Loop: Header=BB0_2 Depth=1
	v_mov_b64_e32 v[6:7], v[8:9]
	s_branch .LBB0_2
.LBB0_8:
	v_mov_b64_e32 v[8:9], v[6:7]
.LBB0_9:
	s_lshl_b64 s[2:3], s[6:7], 3
	s_add_u32 s2, s10, s2
	s_addc_u32 s3, s11, s3
	s_load_dwordx2 s[6:7], s[2:3], 0x0
	s_load_dwordx2 s[10:11], s[0:1], 0x20
	s_mov_b32 s2, 0x5d1745e
                                        ; implicit-def: $vgpr82
                                        ; implicit-def: $vgpr80
                                        ; implicit-def: $vgpr78
                                        ; implicit-def: $vgpr76
                                        ; implicit-def: $vgpr74
                                        ; implicit-def: $vgpr72
                                        ; implicit-def: $vgpr70
                                        ; implicit-def: $vgpr68
                                        ; implicit-def: $vgpr66
	s_waitcnt lgkmcnt(0)
	v_mul_lo_u32 v1, s6, v9
	v_mul_lo_u32 v4, s7, v8
	v_mad_u64_u32 v[2:3], s[0:1], s6, v8, v[2:3]
	v_add3_u32 v3, v4, v3, v1
	v_mul_hi_u32 v1, v0, s2
	v_mul_u32_u24_e32 v1, 44, v1
	v_sub_u32_e32 v60, v0, v1
	v_cmp_gt_u64_e32 vcc, s[10:11], v[8:9]
	v_cmp_le_u64_e64 s[0:1], s[10:11], v[8:9]
	v_add_u32_e32 v64, 44, v60
	s_and_saveexec_b64 s[2:3], s[0:1]
	s_xor_b64 s[0:1], exec, s[2:3]
; %bb.10:
	v_add_u32_e32 v64, 44, v60
	v_add_u32_e32 v82, 0x58, v60
	;; [unrolled: 1-line block ×10, first 2 shown]
; %bb.11:
	s_or_saveexec_b64 s[2:3], s[0:1]
	v_lshl_add_u64 v[62:63], v[2:3], 3, s[8:9]
	s_xor_b64 exec, exec, s[2:3]
	s_cbranch_execz .LBB0_13
; %bb.12:
	v_mov_b32_e32 v61, 0
	v_lshl_add_u64 v[0:1], v[60:61], 3, v[62:63]
	s_movk_i32 s0, 0x1000
	global_load_dwordx2 v[2:3], v[0:1], off
	global_load_dwordx2 v[4:5], v[0:1], off offset:352
	global_load_dwordx2 v[6:7], v[0:1], off offset:704
	;; [unrolled: 1-line block ×11, first 2 shown]
	v_add_co_u32_e64 v0, s[0:1], s0, v0
	v_or_b32_e32 v34, 0x2c0, v60
	v_mov_b32_e32 v35, v61
	v_addc_co_u32_e64 v1, s[0:1], 0, v1, s[0:1]
	v_lshl_add_u64 v[34:35], v[34:35], 3, v[62:63]
	global_load_dwordx2 v[26:27], v[0:1], off offset:128
	global_load_dwordx2 v[28:29], v[0:1], off offset:480
	;; [unrolled: 1-line block ×4, first 2 shown]
	global_load_dwordx2 v[36:37], v[34:35], off
	global_load_dwordx2 v[38:39], v[0:1], off offset:1888
	global_load_dwordx2 v[40:41], v[0:1], off offset:2240
	;; [unrolled: 1-line block ×4, first 2 shown]
	v_lshl_add_u32 v0, v60, 3, 0
	v_add_u32_e32 v82, 0x58, v60
	v_add_u32_e32 v80, 0x84, v60
	;; [unrolled: 1-line block ×12, first 2 shown]
	s_waitcnt vmcnt(19)
	ds_write2_b64 v0, v[2:3], v[4:5] offset1:44
	s_waitcnt vmcnt(17)
	ds_write2_b64 v0, v[6:7], v[8:9] offset0:88 offset1:132
	s_waitcnt vmcnt(15)
	ds_write2_b64 v0, v[10:11], v[12:13] offset0:176 offset1:220
	s_waitcnt vmcnt(13)
	ds_write2_b64 v1, v[14:15], v[16:17] offset0:8 offset1:52
	s_waitcnt vmcnt(11)
	ds_write2_b64 v1, v[18:19], v[20:21] offset0:96 offset1:140
	s_waitcnt vmcnt(9)
	ds_write2_b64 v1, v[22:23], v[24:25] offset0:184 offset1:228
	s_waitcnt vmcnt(7)
	ds_write2_b64 v34, v[26:27], v[28:29] offset0:16 offset1:60
	s_waitcnt vmcnt(5)
	ds_write2_b64 v34, v[30:31], v[32:33] offset0:104 offset1:148
	s_waitcnt vmcnt(3)
	ds_write2_b64 v34, v[36:37], v[38:39] offset0:192 offset1:236
	s_waitcnt vmcnt(1)
	ds_write2_b64 v35, v[40:41], v[42:43] offset0:24 offset1:68
	s_waitcnt vmcnt(0)
	ds_write_b64 v0, v[44:45] offset:7040
.LBB0_13:
	s_or_b64 exec, exec, s[2:3]
	v_lshlrev_b32_e32 v61, 3, v60
	v_add_u32_e32 v100, 0, v61
	v_add_u32_e32 v0, 0x800, v100
	s_waitcnt lgkmcnt(0)
	; wave barrier
	s_waitcnt lgkmcnt(0)
	ds_read2_b64 v[6:9], v0 offset0:184 offset1:206
	v_add_u32_e32 v4, 0x1800, v100
	v_add_u32_e32 v1, 0x1000, v100
	v_add_u32_e32 v2, 0xc00, v100
	ds_read2_b64 v[10:13], v4 offset0:90 offset1:134
	ds_read2_b64 v[14:17], v0 offset0:96 offset1:140
	;; [unrolled: 1-line block ×8, first 2 shown]
	ds_read2_b64 v[44:47], v100 offset1:44
	ds_read2_b64 v[48:51], v100 offset0:88 offset1:132
	v_add_u32_e32 v5, v100, v61
	s_waitcnt lgkmcnt(0)
	; wave barrier
	s_waitcnt lgkmcnt(0)
	v_pk_add_f32 v[2:3], v[44:45], v[8:9] neg_lo:[0,1] neg_hi:[0,1]
	v_pk_add_f32 v[22:23], v[6:7], v[12:13] neg_lo:[0,1] neg_hi:[0,1]
	v_pk_fma_f32 v[8:9], v[44:45], 2.0, v[2:3] op_sel_hi:[1,0,1] neg_lo:[0,0,1] neg_hi:[0,0,1]
	ds_write2_b64 v5, v[8:9], v[2:3] offset1:1
	v_pk_add_f32 v[2:3], v[46:47], v[18:19] neg_lo:[0,1] neg_hi:[0,1]
	v_pk_add_f32 v[12:13], v[30:31], v[24:25] neg_lo:[0,1] neg_hi:[0,1]
	v_pk_fma_f32 v[8:9], v[46:47], 2.0, v[2:3] op_sel_hi:[1,0,1] neg_lo:[0,0,1] neg_hi:[0,0,1]
	v_lshl_add_u32 v46, v64, 4, 0
	ds_write2_b64 v46, v[8:9], v[2:3] offset1:1
	v_pk_add_f32 v[2:3], v[48:49], v[20:21] neg_lo:[0,1] neg_hi:[0,1]
	v_lshl_add_u32 v47, v82, 4, 0
	v_pk_fma_f32 v[8:9], v[48:49], 2.0, v[2:3] op_sel_hi:[1,0,1] neg_lo:[0,0,1] neg_hi:[0,0,1]
	ds_write2_b64 v47, v[8:9], v[2:3] offset1:1
	v_pk_add_f32 v[2:3], v[50:51], v[40:41] neg_lo:[0,1] neg_hi:[0,1]
	v_lshl_add_u32 v48, v80, 4, 0
	v_pk_fma_f32 v[8:9], v[50:51], 2.0, v[2:3] op_sel_hi:[1,0,1] neg_lo:[0,0,1] neg_hi:[0,0,1]
	ds_write2_b64 v48, v[8:9], v[2:3] offset1:1
	v_pk_add_f32 v[8:9], v[14:15], v[26:27] neg_lo:[0,1] neg_hi:[0,1]
	v_pk_add_f32 v[2:3], v[16:17], v[10:11] neg_lo:[0,1] neg_hi:[0,1]
	v_pk_fma_f32 v[10:11], v[14:15], 2.0, v[8:9] op_sel_hi:[1,0,1] neg_lo:[0,0,1] neg_hi:[0,0,1]
	v_pk_add_f32 v[14:15], v[36:37], v[42:43] neg_lo:[0,1] neg_hi:[0,1]
	v_pk_fma_f32 v[20:21], v[6:7], 2.0, v[22:23] op_sel_hi:[1,0,1] neg_lo:[0,0,1] neg_hi:[0,0,1]
	v_pk_fma_f32 v[6:7], v[16:17], 2.0, v[2:3] op_sel_hi:[1,0,1] neg_lo:[0,0,1] neg_hi:[0,0,1]
	v_lshl_add_u32 v49, v78, 4, 0
	v_pk_fma_f32 v[16:17], v[36:37], 2.0, v[14:15] op_sel_hi:[1,0,1] neg_lo:[0,0,1] neg_hi:[0,0,1]
	v_pk_add_f32 v[24:25], v[38:39], v[32:33] neg_lo:[0,1] neg_hi:[0,1]
	v_lshl_add_u32 v50, v76, 4, 0
	ds_write2_b64 v49, v[16:17], v[14:15] offset1:1
	v_pk_add_f32 v[16:17], v[28:29], v[34:35] neg_lo:[0,1] neg_hi:[0,1]
	v_lshl_add_u32 v51, v74, 4, 0
	v_lshl_add_u32 v52, v72, 4, 0
	v_lshl_add_u32 v67, v70, 4, 0
	v_lshl_add_u32 v44, v68, 4, 0
	v_pk_fma_f32 v[26:27], v[38:39], 2.0, v[24:25] op_sel_hi:[1,0,1] neg_lo:[0,0,1] neg_hi:[0,0,1]
	v_cmp_gt_u32_e64 s[0:1], 22, v60
	v_pk_fma_f32 v[14:15], v[30:31], 2.0, v[12:13] op_sel_hi:[1,0,1] neg_lo:[0,0,1] neg_hi:[0,0,1]
	v_pk_fma_f32 v[18:19], v[28:29], 2.0, v[16:17] op_sel_hi:[1,0,1] neg_lo:[0,0,1] neg_hi:[0,0,1]
	ds_write2_b64 v50, v[26:27], v[24:25] offset1:1
	ds_write2_b64 v51, v[18:19], v[16:17] offset1:1
	;; [unrolled: 1-line block ×5, first 2 shown]
	s_and_saveexec_b64 s[2:3], s[0:1]
	s_cbranch_execz .LBB0_15
; %bb.14:
	v_lshl_add_u32 v2, v66, 4, 0
	ds_write2_b64 v2, v[20:21], v[22:23] offset1:1
.LBB0_15:
	s_or_b64 exec, exec, s[2:3]
	v_lshlrev_b32_e32 v54, 3, v82
	v_lshlrev_b32_e32 v55, 3, v80
	v_sub_u32_e32 v3, v47, v54
	v_sub_u32_e32 v5, v48, v55
	v_lshlrev_b32_e32 v56, 3, v78
	v_lshlrev_b32_e32 v57, 3, v76
	s_waitcnt lgkmcnt(0)
	; wave barrier
	s_waitcnt lgkmcnt(0)
	v_lshlrev_b32_e32 v45, 3, v64
	ds_read_b64 v[26:27], v3
	ds_read_b64 v[28:29], v5
	v_sub_u32_e32 v3, v49, v56
	v_sub_u32_e32 v5, v50, v57
	v_lshlrev_b32_e32 v58, 3, v74
	v_lshlrev_b32_e32 v59, 3, v72
	;; [unrolled: 1-line block ×4, first 2 shown]
	v_sub_u32_e32 v2, v46, v45
	v_sub_u32_e32 v6, v51, v58
	v_add_u32_e32 v7, 0x1400, v100
	v_sub_u32_e32 v8, v52, v59
	ds_read_b64 v[34:35], v3
	ds_read_b64 v[36:37], v5
	;; [unrolled: 1-line block ×4, first 2 shown]
	v_sub_u32_e32 v3, v67, v65
	v_sub_u32_e32 v5, v44, v86
	ds_read_b64 v[30:31], v3
	ds_read_b64 v[24:25], v5
	ds_read_b64 v[40:41], v2
	ds_read_b64 v[42:43], v100
	ds_read2_b64 v[16:19], v0 offset0:206 offset1:250
	ds_read2_b64 v[12:15], v1 offset0:38 offset1:82
	;; [unrolled: 1-line block ×5, first 2 shown]
	v_lshlrev_b32_e32 v77, 1, v64
	v_lshlrev_b32_e32 v79, 1, v82
	;; [unrolled: 1-line block ×9, first 2 shown]
	v_lshl_add_u32 v101, v66, 3, 0
	s_and_saveexec_b64 s[2:3], s[0:1]
	s_cbranch_execz .LBB0_17
; %bb.16:
	ds_read_b64 v[20:21], v101
	ds_read_b64 v[22:23], v100 offset:7216
.LBB0_17:
	s_or_b64 exec, exec, s[2:3]
	v_and_b32_e32 v73, 1, v60
	v_lshlrev_b32_e32 v53, 3, v73
	global_load_dwordx2 v[88:89], v53, s[4:5]
	v_lshlrev_b32_e32 v87, 1, v60
	s_movk_i32 s2, 0x7c
	s_movk_i32 s6, 0x3fc
	;; [unrolled: 1-line block ×3, first 2 shown]
	v_sub_u32_e32 v53, 0, v45
	v_sub_u32_e32 v45, 0, v86
	s_waitcnt lgkmcnt(0)
	v_mov_b32_e32 v86, v23
	v_and_or_b32 v87, v87, s2, v73
	v_and_or_b32 v84, v84, s6, v73
	;; [unrolled: 1-line block ×3, first 2 shown]
	v_lshl_add_u32 v106, v87, 3, 0
	v_lshl_add_u32 v107, v84, 3, 0
	;; [unrolled: 1-line block ×3, first 2 shown]
	s_movk_i32 s3, 0xfc
	s_movk_i32 s7, 0x1fc
	v_and_or_b32 v77, v77, s3, v73
	v_and_or_b32 v79, v79, s7, v73
	;; [unrolled: 1-line block ×4, first 2 shown]
	s_waitcnt lgkmcnt(0)
	; wave barrier
	v_lshl_add_u32 v77, v77, 3, 0
	v_lshl_add_u32 v79, v79, 3, 0
	;; [unrolled: 1-line block ×4, first 2 shown]
	v_sub_u32_e32 v54, 0, v54
	v_sub_u32_e32 v55, 0, v55
	;; [unrolled: 1-line block ×6, first 2 shown]
	s_waitcnt vmcnt(0)
	v_pk_mul_f32 v[84:85], v[86:87], v[88:89] op_sel_hi:[0,1]
	v_pk_mul_f32 v[86:87], v[88:89], v[16:17] op_sel:[0,1]
	v_pk_mul_f32 v[90:91], v[88:89], v[18:19] op_sel:[0,1]
	;; [unrolled: 1-line block ×7, first 2 shown]
	v_pk_fma_f32 v[104:105], v[88:89], v[16:17], v[86:87] op_sel:[0,0,1] op_sel_hi:[1,1,0]
	v_pk_fma_f32 v[16:17], v[88:89], v[16:17], v[86:87] op_sel:[0,0,1] op_sel_hi:[1,0,0] neg_lo:[1,0,0] neg_hi:[1,0,0]
	v_pk_fma_f32 v[86:87], v[88:89], v[18:19], v[90:91] op_sel:[0,0,1] op_sel_hi:[1,1,0]
	v_pk_fma_f32 v[18:19], v[88:89], v[18:19], v[90:91] op_sel:[0,0,1] op_sel_hi:[1,0,0] neg_lo:[1,0,0] neg_hi:[1,0,0]
	;; [unrolled: 2-line block ×8, first 2 shown]
	v_mov_b32_e32 v105, v17
	v_mov_b32_e32 v87, v19
	;; [unrolled: 1-line block ×7, first 2 shown]
	v_pk_add_f32 v[0:1], v[42:43], v[104:105] neg_lo:[0,1] neg_hi:[0,1]
	v_mov_b32_e32 v99, v23
	v_pk_add_f32 v[8:9], v[40:41], v[86:87] neg_lo:[0,1] neg_hi:[0,1]
	v_pk_add_f32 v[12:13], v[26:27], v[90:91] neg_lo:[0,1] neg_hi:[0,1]
	;; [unrolled: 1-line block ×6, first 2 shown]
	v_pk_fma_f32 v[42:43], v[42:43], 2.0, v[0:1] op_sel_hi:[1,0,1] neg_lo:[0,0,1] neg_hi:[0,0,1]
	v_pk_fma_f32 v[40:41], v[40:41], 2.0, v[8:9] op_sel_hi:[1,0,1] neg_lo:[0,0,1] neg_hi:[0,0,1]
	;; [unrolled: 1-line block ×7, first 2 shown]
	ds_write2_b64 v106, v[42:43], v[0:1] offset1:2
	ds_write2_b64 v77, v[40:41], v[8:9] offset1:2
	;; [unrolled: 1-line block ×7, first 2 shown]
	v_and_or_b32 v0, v75, s8, v73
	v_lshl_add_u32 v12, v0, 3, 0
	v_pk_mul_f32 v[0:1], v[88:89], v[10:11] op_sel:[0,1]
	v_pk_add_f32 v[2:3], v[20:21], v[98:99] neg_lo:[0,1] neg_hi:[0,1]
	v_pk_fma_f32 v[8:9], v[88:89], v[10:11], v[0:1] op_sel:[0,0,1] op_sel_hi:[1,1,0]
	v_pk_fma_f32 v[0:1], v[88:89], v[10:11], v[0:1] op_sel:[0,0,1] op_sel_hi:[1,0,0] neg_lo:[1,0,0] neg_hi:[1,0,0]
	s_nop 0
	v_mov_b32_e32 v9, v1
	v_pk_add_f32 v[0:1], v[32:33], v[8:9] neg_lo:[0,1] neg_hi:[0,1]
	s_nop 0
	v_pk_fma_f32 v[8:9], v[32:33], 2.0, v[0:1] op_sel_hi:[1,0,1] neg_lo:[0,0,1] neg_hi:[0,0,1]
	ds_write2_b64 v12, v[8:9], v[0:1] offset1:2
	v_and_or_b32 v0, v71, s6, v73
	v_lshl_add_u32 v10, v0, 3, 0
	v_pk_mul_f32 v[0:1], v[88:89], v[4:5] op_sel:[0,1]
	s_nop 0
	v_pk_fma_f32 v[8:9], v[88:89], v[4:5], v[0:1] op_sel:[0,0,1] op_sel_hi:[1,1,0]
	v_pk_fma_f32 v[0:1], v[88:89], v[4:5], v[0:1] op_sel:[0,0,1] op_sel_hi:[1,0,0] neg_lo:[1,0,0] neg_hi:[1,0,0]
	s_nop 0
	v_mov_b32_e32 v9, v1
	v_pk_add_f32 v[0:1], v[30:31], v[8:9] neg_lo:[0,1] neg_hi:[0,1]
	s_nop 0
	v_pk_fma_f32 v[4:5], v[30:31], 2.0, v[0:1] op_sel_hi:[1,0,1] neg_lo:[0,0,1] neg_hi:[0,0,1]
	ds_write2_b64 v10, v[4:5], v[0:1] offset1:2
	v_and_or_b32 v0, v69, s6, v73
	v_lshl_add_u32 v8, v0, 3, 0
	v_pk_mul_f32 v[0:1], v[88:89], v[6:7] op_sel:[0,1]
	s_nop 0
	v_pk_fma_f32 v[4:5], v[88:89], v[6:7], v[0:1] op_sel:[0,0,1] op_sel_hi:[1,1,0]
	v_pk_fma_f32 v[0:1], v[88:89], v[6:7], v[0:1] op_sel:[0,0,1] op_sel_hi:[1,0,0] neg_lo:[1,0,0] neg_hi:[1,0,0]
	s_nop 0
	v_mov_b32_e32 v5, v1
	v_pk_add_f32 v[0:1], v[24:25], v[4:5] neg_lo:[0,1] neg_hi:[0,1]
	s_nop 0
	v_pk_fma_f32 v[4:5], v[24:25], 2.0, v[0:1] op_sel_hi:[1,0,1] neg_lo:[0,0,1] neg_hi:[0,0,1]
	ds_write2_b64 v8, v[4:5], v[0:1] offset1:2
	s_and_saveexec_b64 s[2:3], s[0:1]
	s_cbranch_execz .LBB0_19
; %bb.18:
	v_lshlrev_b32_e32 v0, 1, v66
	v_and_or_b32 v0, v0, s6, v73
	v_lshl_add_u32 v4, v0, 3, 0
	v_pk_fma_f32 v[0:1], v[20:21], 2.0, v[2:3] op_sel_hi:[1,0,1] neg_lo:[0,0,1] neg_hi:[0,0,1]
	ds_write2_b64 v4, v[0:1], v[2:3] offset1:2
.LBB0_19:
	s_or_b64 exec, exec, s[2:3]
	v_and_b32_e32 v75, 3, v60
	v_lshlrev_b32_e32 v0, 4, v75
	s_waitcnt lgkmcnt(0)
	; wave barrier
	s_waitcnt lgkmcnt(0)
	global_load_dwordx4 v[4:7], v0, s[4:5] offset:16
	v_add_u32_e32 v71, 0x1000, v100
	v_add_u32_e32 v73, 0x800, v100
	ds_read2_b64 v[8:11], v71 offset0:104 offset1:148
	ds_read2_b64 v[12:15], v73 offset0:96 offset1:140
	v_lshrrev_b32_e32 v0, 2, v60
	v_lshrrev_b32_e32 v1, 2, v64
	;; [unrolled: 1-line block ×7, first 2 shown]
	v_add_u32_e32 v102, v52, v59
	v_add_u32_e32 v103, v51, v58
	;; [unrolled: 1-line block ×8, first 2 shown]
	v_mul_u32_u24_e32 v50, 12, v0
	v_mul_lo_u32 v51, v1, 12
	v_mul_lo_u32 v52, v16, 12
	v_mul_lo_u32 v53, v17, 12
	v_mul_lo_u32 v54, v18, 12
	v_mul_lo_u32 v55, v19, 12
	v_mul_lo_u32 v56, v20, 12
	ds_read2_b64 v[16:19], v71 offset0:16 offset1:60
	ds_read2_b64 v[20:23], v77 offset0:24 offset1:68
	;; [unrolled: 1-line block ×3, first 2 shown]
	ds_read_b64 v[0:1], v103
	ds_read_b64 v[32:33], v104
	;; [unrolled: 1-line block ×4, first 2 shown]
	ds_read2_b64 v[28:31], v71 offset0:192 offset1:236
	ds_read_b64 v[38:39], v106
	ds_read_b64 v[40:41], v107
	;; [unrolled: 1-line block ×3, first 2 shown]
	ds_read_b64 v[46:47], v100 offset:7040
	ds_read_b64 v[48:49], v100
	v_or_b32_e32 v50, v50, v75
	v_or_b32_e32 v51, v51, v75
	;; [unrolled: 1-line block ×7, first 2 shown]
	v_lshl_add_u32 v75, v50, 3, 0
	v_lshl_add_u32 v79, v51, 3, 0
	;; [unrolled: 1-line block ×7, first 2 shown]
	s_mov_b32 s2, 0x3f5db3d7
	s_waitcnt lgkmcnt(0)
	; wave barrier
	s_waitcnt lgkmcnt(0)
	v_add_u32_e32 v108, v44, v45
	s_mov_b32 s8, 0xbeae86e6
	s_mov_b32 s11, s8
	;; [unrolled: 1-line block ×12, first 2 shown]
	s_waitcnt vmcnt(0)
	v_pk_mul_f32 v[50:51], v[4:5], v[12:13] op_sel:[0,1]
	v_pk_mul_f32 v[52:53], v[6:7], v[10:11] op_sel:[0,1]
	;; [unrolled: 1-line block ×3, first 2 shown]
	v_mov_b32_e32 v56, v7
	v_pk_fma_f32 v[84:85], v[4:5], v[12:13], v[50:51] op_sel:[0,0,1] op_sel_hi:[1,1,0]
	v_pk_fma_f32 v[12:13], v[4:5], v[12:13], v[50:51] op_sel:[0,0,1] op_sel_hi:[1,0,0] neg_lo:[1,0,0] neg_hi:[1,0,0]
	v_pk_fma_f32 v[50:51], v[6:7], v[10:11], v[52:53] op_sel:[0,0,1] op_sel_hi:[1,1,0]
	v_pk_fma_f32 v[10:11], v[6:7], v[10:11], v[52:53] op_sel:[0,0,1] op_sel_hi:[1,0,0] neg_lo:[1,0,0] neg_hi:[1,0,0]
	;; [unrolled: 2-line block ×3, first 2 shown]
	v_pk_mul_f32 v[54:55], v[46:47], v[56:57] op_sel_hi:[1,0]
	v_mov_b32_e32 v85, v13
	v_mov_b32_e32 v51, v11
	v_pk_fma_f32 v[10:11], v[46:47], v[6:7], v[54:55] op_sel:[0,0,1] op_sel_hi:[1,1,0]
	v_pk_fma_f32 v[12:13], v[46:47], v[6:7], v[54:55] op_sel:[0,0,1] op_sel_hi:[1,0,0] neg_lo:[0,0,1] neg_hi:[0,0,1]
	v_pk_mul_f32 v[46:47], v[26:27], v[4:5] op_sel:[0,1]
	v_pk_mul_f32 v[58:59], v[16:17], v[4:5] op_sel:[0,1]
	v_pk_fma_f32 v[54:55], v[26:27], v[4:5], v[46:47] op_sel:[0,0,1] op_sel_hi:[1,1,0]
	v_pk_fma_f32 v[26:27], v[26:27], v[4:5], v[46:47] op_sel:[0,0,1] op_sel_hi:[1,0,0] neg_lo:[0,0,1] neg_hi:[0,0,1]
	v_pk_fma_f32 v[86:87], v[16:17], v[4:5], v[58:59] op_sel:[0,0,1] op_sel_hi:[1,1,0]
	v_mov_b32_e32 v55, v27
	v_pk_mul_f32 v[26:27], v[20:21], v[56:57] op_sel_hi:[1,0]
	v_pk_fma_f32 v[16:17], v[16:17], v[4:5], v[58:59] op_sel:[0,0,1] op_sel_hi:[1,0,0] neg_lo:[0,0,1] neg_hi:[0,0,1]
	v_pk_mul_f32 v[58:59], v[22:23], v[56:57] op_sel_hi:[1,0]
	v_pk_fma_f32 v[46:47], v[20:21], v[6:7], v[26:27] op_sel:[0,0,1] op_sel_hi:[1,1,0]
	v_pk_fma_f32 v[20:21], v[20:21], v[6:7], v[26:27] op_sel:[0,0,1] op_sel_hi:[1,0,0] neg_lo:[0,0,1] neg_hi:[0,0,1]
	v_pk_mul_f32 v[26:27], v[24:25], v[4:5] op_sel:[0,1]
	v_mov_b32_e32 v53, v19
	v_mov_b32_e32 v87, v17
	v_pk_fma_f32 v[16:17], v[22:23], v[6:7], v[58:59] op_sel:[0,0,1] op_sel_hi:[1,1,0]
	v_pk_fma_f32 v[18:19], v[22:23], v[6:7], v[58:59] op_sel:[0,0,1] op_sel_hi:[1,0,0] neg_lo:[0,0,1] neg_hi:[0,0,1]
	v_pk_fma_f32 v[58:59], v[24:25], v[4:5], v[26:27] op_sel:[0,0,1] op_sel_hi:[1,1,0]
	v_pk_fma_f32 v[24:25], v[24:25], v[4:5], v[26:27] op_sel:[0,0,1] op_sel_hi:[1,0,0] neg_lo:[0,0,1] neg_hi:[0,0,1]
	v_pk_add_f32 v[22:23], v[40:41], v[84:85]
	v_mov_b32_e32 v59, v25
	v_pk_mul_f32 v[24:25], v[30:31], v[56:57] op_sel_hi:[1,0]
	v_mov_b32_e32 v17, v19
	v_pk_fma_f32 v[26:27], v[30:31], v[6:7], v[24:25] op_sel:[0,0,1] op_sel_hi:[1,1,0]
	v_pk_fma_f32 v[24:25], v[30:31], v[6:7], v[24:25] op_sel:[0,0,1] op_sel_hi:[1,0,0] neg_lo:[0,0,1] neg_hi:[0,0,1]
	v_pk_mul_f32 v[30:31], v[14:15], v[4:5] op_sel:[0,1]
	v_pk_add_f32 v[18:19], v[22:23], v[50:51]
	v_pk_fma_f32 v[88:89], v[14:15], v[4:5], v[30:31] op_sel:[0,0,1] op_sel_hi:[1,1,0]
	v_pk_fma_f32 v[14:15], v[14:15], v[4:5], v[30:31] op_sel:[0,0,1] op_sel_hi:[1,0,0] neg_lo:[0,0,1] neg_hi:[0,0,1]
	v_mov_b32_e32 v27, v25
	v_mov_b32_e32 v89, v15
	v_pk_mul_f32 v[14:15], v[28:29], v[56:57] op_sel_hi:[1,0]
	v_pk_add_f32 v[24:25], v[36:37], v[58:59]
	v_pk_fma_f32 v[30:31], v[28:29], v[6:7], v[14:15] op_sel:[0,0,1] op_sel_hi:[1,1,0]
	v_pk_fma_f32 v[14:15], v[28:29], v[6:7], v[14:15] op_sel:[0,0,1] op_sel_hi:[1,0,0] neg_lo:[0,0,1] neg_hi:[0,0,1]
	v_pk_mul_f32 v[28:29], v[4:5], v[42:43] op_sel:[0,1]
	v_mov_b32_e32 v31, v15
	v_pk_fma_f32 v[56:57], v[4:5], v[42:43], v[28:29] op_sel:[0,0,1] op_sel_hi:[1,1,0]
	v_pk_fma_f32 v[4:5], v[4:5], v[42:43], v[28:29] op_sel:[0,0,1] op_sel_hi:[1,0,0] neg_lo:[1,0,0] neg_hi:[1,0,0]
	v_pk_add_f32 v[14:15], v[38:39], v[88:89]
	v_mov_b32_e32 v57, v5
	v_pk_mul_f32 v[4:5], v[6:7], v[8:9] op_sel:[0,1]
	v_pk_add_f32 v[14:15], v[14:15], v[30:31]
	v_pk_fma_f32 v[28:29], v[6:7], v[8:9], v[4:5] op_sel:[0,0,1] op_sel_hi:[1,1,0]
	v_pk_fma_f32 v[4:5], v[6:7], v[8:9], v[4:5] op_sel:[0,0,1] op_sel_hi:[1,0,0] neg_lo:[1,0,0] neg_hi:[1,0,0]
	v_mov_b32_e32 v47, v21
	v_mov_b32_e32 v29, v5
	v_pk_add_f32 v[6:7], v[56:57], v[28:29]
	v_pk_add_f32 v[8:9], v[56:57], v[28:29] neg_lo:[0,1] neg_hi:[0,1]
	v_pk_add_f32 v[4:5], v[48:49], v[56:57]
	v_pk_fma_f32 v[6:7], v[6:7], 0.5, v[48:49] op_sel_hi:[1,0,1] neg_lo:[1,0,0] neg_hi:[1,0,0]
	v_pk_mul_f32 v[8:9], v[8:9], s[2:3] op_sel_hi:[1,0]
	v_pk_add_f32 v[4:5], v[4:5], v[28:29]
	v_pk_add_f32 v[28:29], v[6:7], v[8:9] op_sel:[0,1] op_sel_hi:[1,0] neg_lo:[0,1] neg_hi:[0,1]
	v_pk_add_f32 v[6:7], v[6:7], v[8:9] op_sel:[0,1] op_sel_hi:[1,0]
	v_mov_b32_e32 v8, v28
	v_mov_b32_e32 v9, v7
	v_mov_b32_e32 v7, v29
	ds_write2_b64 v75, v[4:5], v[8:9] offset1:4
	ds_write_b64 v75, v[6:7] offset:64
	v_pk_add_f32 v[4:5], v[84:85], v[50:51]
	v_pk_add_f32 v[6:7], v[84:85], v[50:51] neg_lo:[0,1] neg_hi:[0,1]
	v_pk_fma_f32 v[4:5], v[4:5], 0.5, v[40:41] op_sel_hi:[1,0,1] neg_lo:[1,0,0] neg_hi:[1,0,0]
	v_pk_mul_f32 v[6:7], v[6:7], s[2:3] op_sel_hi:[1,0]
	v_pk_add_f32 v[24:25], v[24:25], v[26:27]
	v_pk_add_f32 v[8:9], v[4:5], v[6:7] op_sel:[0,1] op_sel_hi:[1,0] neg_lo:[0,1] neg_hi:[0,1]
	v_pk_add_f32 v[4:5], v[4:5], v[6:7] op_sel:[0,1] op_sel_hi:[1,0]
	v_mov_b32_e32 v6, v8
	v_mov_b32_e32 v7, v5
	v_mov_b32_e32 v5, v9
	ds_write2_b64 v79, v[18:19], v[6:7] offset1:4
	ds_write_b64 v79, v[4:5] offset:64
	v_pk_add_f32 v[4:5], v[88:89], v[30:31]
	v_pk_add_f32 v[6:7], v[88:89], v[30:31] neg_lo:[0,1] neg_hi:[0,1]
	;; [unrolled: 12-line block ×4, first 2 shown]
	v_pk_fma_f32 v[4:5], v[4:5], 0.5, v[34:35] op_sel_hi:[1,0,1] neg_lo:[1,0,0] neg_hi:[1,0,0]
	v_pk_mul_f32 v[6:7], v[6:7], s[2:3] op_sel_hi:[1,0]
	v_mov_b32_e32 v11, v13
	v_pk_add_f32 v[8:9], v[4:5], v[6:7] op_sel:[0,1] op_sel_hi:[1,0] neg_lo:[0,1] neg_hi:[0,1]
	v_pk_add_f32 v[4:5], v[4:5], v[6:7] op_sel:[0,1] op_sel_hi:[1,0]
	v_mov_b32_e32 v6, v8
	v_mov_b32_e32 v7, v5
	;; [unrolled: 1-line block ×3, first 2 shown]
	ds_write2_b64 v90, v[20:21], v[6:7] offset1:4
	ds_write_b64 v90, v[4:5] offset:64
	v_pk_add_f32 v[4:5], v[86:87], v[16:17]
	v_pk_add_f32 v[6:7], v[86:87], v[16:17] neg_lo:[0,1] neg_hi:[0,1]
	v_pk_fma_f32 v[4:5], v[4:5], 0.5, v[32:33] op_sel_hi:[1,0,1] neg_lo:[1,0,0] neg_hi:[1,0,0]
	v_pk_mul_f32 v[6:7], v[6:7], s[2:3] op_sel_hi:[1,0]
	v_pk_add_f32 v[12:13], v[0:1], v[52:53]
	v_pk_add_f32 v[8:9], v[4:5], v[6:7] op_sel:[0,1] op_sel_hi:[1,0] neg_lo:[0,1] neg_hi:[0,1]
	v_pk_add_f32 v[4:5], v[4:5], v[6:7] op_sel:[0,1] op_sel_hi:[1,0]
	v_pk_add_f32 v[22:23], v[32:33], v[86:87]
	v_mov_b32_e32 v7, v5
	v_mov_b32_e32 v5, v9
	ds_write_b64 v91, v[4:5] offset:64
	v_pk_add_f32 v[4:5], v[52:53], v[10:11]
	v_pk_add_f32 v[22:23], v[22:23], v[16:17]
	v_pk_fma_f32 v[0:1], v[4:5], 0.5, v[0:1] op_sel_hi:[1,0,1] neg_lo:[1,0,0] neg_hi:[1,0,0]
	v_pk_add_f32 v[4:5], v[52:53], v[10:11] neg_lo:[0,1] neg_hi:[0,1]
	v_mov_b32_e32 v6, v8
	v_pk_mul_f32 v[4:5], v[4:5], s[2:3] op_sel_hi:[1,0]
	ds_write2_b64 v91, v[22:23], v[6:7] offset1:4
	v_pk_add_f32 v[6:7], v[0:1], v[4:5] op_sel:[0,1] op_sel_hi:[1,0] neg_lo:[0,1] neg_hi:[0,1]
	v_pk_add_f32 v[0:1], v[0:1], v[4:5] op_sel:[0,1] op_sel_hi:[1,0]
	s_movk_i32 s2, 0xab
	v_mov_b32_e32 v5, v1
	v_mov_b32_e32 v1, v7
	ds_write_b64 v92, v[0:1] offset:64
	v_mul_lo_u16_sdwa v0, v60, s2 dst_sel:DWORD dst_unused:UNUSED_PAD src0_sel:BYTE_0 src1_sel:DWORD
	v_lshrrev_b16_e32 v118, 11, v0
	v_mul_lo_u16_e32 v0, 12, v118
	v_sub_u16_e32 v119, v60, v0
	v_mov_b32_e32 v40, 6
	v_mul_u32_u24_sdwa v0, v119, v40 dst_sel:DWORD dst_unused:UNUSED_PAD src0_sel:BYTE_0 src1_sel:DWORD
	v_pk_add_f32 v[12:13], v[12:13], v[10:11]
	v_mov_b32_e32 v4, v6
	v_lshlrev_b32_e32 v0, 3, v0
	ds_write2_b64 v92, v[12:13], v[4:5] offset1:4
	s_waitcnt lgkmcnt(0)
	; wave barrier
	s_waitcnt lgkmcnt(0)
	global_load_dwordx4 v[8:11], v0, s[4:5] offset:96
	global_load_dwordx4 v[56:59], v0, s[4:5] offset:80
	;; [unrolled: 1-line block ×3, first 2 shown]
	ds_read2_b64 v[32:35], v100 offset1:176
	ds_read_b64 v[84:85], v107
	ds_read_b64 v[0:1], v106
	;; [unrolled: 1-line block ×5, first 2 shown]
	v_add_u32_e32 v75, 0xc00, v100
	ds_read2_b64 v[28:31], v75 offset0:100 offset1:144
	ds_read2_b64 v[4:7], v71 offset0:148 offset1:192
	v_add_u32_e32 v14, 0x1400, v100
	ds_read2_b64 v[36:39], v14 offset0:108 offset1:152
	s_waitcnt lgkmcnt(5)
	v_mov_b32_e32 v110, v99
	s_mov_b32 s3, 0x3f08b237
	s_mov_b32 s10, s3
	;; [unrolled: 1-line block ×3, first 2 shown]
	s_waitcnt vmcnt(2) lgkmcnt(3)
	v_mul_f32_e32 v90, v9, v13
	v_mul_f32_e32 v9, v9, v12
	;; [unrolled: 1-line block ×3, first 2 shown]
	v_fma_f32 v86, v8, v13, -v9
	s_waitcnt lgkmcnt(2)
	v_mul_f32_e32 v8, v11, v30
	v_mul_f32_e32 v92, v10, v30
	v_fma_f32 v30, v10, v31, -v8
	v_mul_lo_u16_sdwa v8, v64, s2 dst_sel:DWORD dst_unused:UNUSED_PAD src0_sel:BYTE_0 src1_sel:DWORD
	v_lshrrev_b16_e32 v83, 11, v8
	v_mul_lo_u16_e32 v8, 12, v83
	v_mul_f32_e32 v94, v11, v31
	v_sub_u16_e32 v109, v64, v8
	v_mul_lo_u16_sdwa v31, v82, s2 dst_sel:DWORD dst_unused:UNUSED_PAD src0_sel:BYTE_0 src1_sel:DWORD
	v_mul_u32_u24_sdwa v8, v109, v40 dst_sel:DWORD dst_unused:UNUSED_PAD src0_sel:BYTE_0 src1_sel:DWORD
	v_lshrrev_b16_e32 v79, 11, v31
	v_lshlrev_b32_e32 v20, 3, v8
	v_mul_lo_u16_e32 v31, 12, v79
	global_load_dwordx4 v[8:11], v20, s[4:5] offset:112
	global_load_dwordx4 v[12:15], v20, s[4:5] offset:96
	;; [unrolled: 1-line block ×3, first 2 shown]
	v_sub_u16_e32 v81, v82, v31
	v_mul_u32_u24_sdwa v31, v81, v40 dst_sel:DWORD dst_unused:UNUSED_PAD src0_sel:BYTE_0 src1_sel:DWORD
	v_add_u32_e32 v20, 0x400, v100
	v_lshlrev_b32_e32 v31, 3, v31
	ds_read2_b64 v[24:27], v20 offset0:92 offset1:180
	ds_read2_b64 v[20:23], v73 offset0:96 offset1:184
	global_load_dwordx4 v[48:51], v31, s[4:5] offset:112
	global_load_dwordx4 v[40:43], v31, s[4:5] offset:96
	;; [unrolled: 1-line block ×3, first 2 shown]
	s_waitcnt vmcnt(7)
	v_pk_mul_f32 v[112:113], v[56:57], v[98:99] op_sel_hi:[1,0]
	s_mov_b32 s2, 0xbee1c552
	v_pk_fma_f32 v[110:111], v[56:57], v[110:111], v[112:113] op_sel:[0,0,1] op_sel_hi:[1,1,0] neg_lo:[0,0,1] neg_hi:[0,0,1]
	v_pk_fma_f32 v[56:57], v[56:57], v[98:99], v[112:113] op_sel:[0,1,1] op_sel_hi:[1,1,0]
	v_pk_mul_f32 v[98:99], v[58:59], v[96:97] op_sel_hi:[1,0]
	v_mov_b32_e32 v56, v97
	v_mov_b32_e32 v111, v57
	v_pk_fma_f32 v[56:57], v[58:59], v[56:57], v[98:99] op_sel:[0,0,1] op_sel_hi:[1,1,0] neg_lo:[0,0,1] neg_hi:[0,0,1]
	v_pk_fma_f32 v[58:59], v[58:59], v[96:97], v[98:99] op_sel:[0,1,1] op_sel_hi:[1,1,0]
	s_waitcnt vmcnt(6) lgkmcnt(3)
	v_pk_mul_f32 v[96:97], v[4:5], v[52:53] op_sel_hi:[0,1]
	v_mov_b32_e32 v58, v5
	v_pk_fma_f32 v[4:5], v[4:5], v[52:53], v[96:97] op_sel:[1,0,1] op_sel_hi:[1,1,0]
	v_mov_b32_e32 v57, v59
	v_pk_fma_f32 v[58:59], v[58:59], v[52:53], v[96:97] op_sel:[0,0,1] op_sel_hi:[1,1,0] neg_lo:[0,0,1] neg_hi:[0,0,1]
	s_waitcnt lgkmcnt(2)
	v_mov_b32_e32 v4, v39
	v_pk_mul_f32 v[52:53], v[38:39], v[54:55] op_sel_hi:[0,1]
	v_mov_b32_e32 v59, v5
	v_pk_fma_f32 v[4:5], v[4:5], v[54:55], v[52:53] op_sel:[0,0,1] op_sel_hi:[1,1,0] neg_lo:[0,0,1] neg_hi:[0,0,1]
	v_pk_fma_f32 v[38:39], v[38:39], v[54:55], v[52:53] op_sel:[1,0,1] op_sel_hi:[1,1,0]
	v_mov_b32_e32 v93, v110
	v_mov_b32_e32 v5, v39
	;; [unrolled: 1-line block ×5, first 2 shown]
	v_pk_add_f32 v[38:39], v[110:111], v[4:5]
	v_pk_add_f32 v[96:97], v[110:111], v[4:5] neg_lo:[0,1] neg_hi:[0,1]
	v_pk_add_f32 v[98:99], v[56:57], v[58:59]
	v_pk_add_f32 v[112:113], v[56:57], v[58:59] neg_lo:[0,1] neg_hi:[0,1]
	v_pk_add_f32 v[4:5], v[92:93], v[94:95]
	v_pk_add_f32 v[56:57], v[88:89], v[90:91]
	v_mov_b32_e32 v31, v4
	v_mov_b32_e32 v87, v56
	v_pk_add_f32 v[52:53], v[30:31], v[86:87] neg_lo:[0,1] neg_hi:[0,1]
	v_mov_b32_e32 v55, v97
	v_mov_b32_e32 v54, v52
	;; [unrolled: 1-line block ×4, first 2 shown]
	v_pk_add_f32 v[54:55], v[54:55], v[58:59] neg_lo:[0,1] neg_hi:[0,1]
	v_mov_b32_e32 v88, v52
	v_pk_mul_f32 v[58:59], v[54:55], s[10:11]
	v_mov_b32_e32 v54, v96
	v_mov_b32_e32 v55, v53
	;; [unrolled: 1-line block ×3, first 2 shown]
	v_pk_add_f32 v[52:53], v[52:53], v[112:113]
	v_pk_add_f32 v[88:89], v[54:55], v[88:89] neg_lo:[0,1] neg_hi:[0,1]
	v_pk_add_f32 v[90:91], v[52:53], v[96:97]
	v_mov_b32_e32 v52, v99
	v_mov_b32_e32 v53, v86
	v_mov_b32_e32 v54, v39
	v_mov_b32_e32 v55, v30
	v_pk_add_f32 v[30:31], v[52:53], v[54:55]
	v_pk_add_f32 v[52:53], v[56:57], v[4:5]
	v_mov_b32_e32 v54, v99
	v_mov_b32_e32 v4, v52
	;; [unrolled: 1-line block ×3, first 2 shown]
	v_pk_add_f32 v[54:55], v[4:5], v[54:55] neg_lo:[0,1] neg_hi:[0,1]
	v_mov_b32_e32 v86, v39
	v_mov_b32_e32 v87, v31
	;; [unrolled: 1-line block ×3, first 2 shown]
	v_pk_add_f32 v[30:31], v[30:31], v[52:53]
	v_pk_add_f32 v[86:87], v[86:87], v[56:57] neg_lo:[0,1] neg_hi:[0,1]
	v_pk_add_f32 v[92:93], v[30:31], v[32:33]
	s_mov_b32 s10, 0x3f955555
	v_pk_mul_f32 v[94:95], v[54:55], s[6:7]
	v_pk_fma_f32 v[110:111], v[30:31], s[10:11], v[92:93] op_sel_hi:[1,0,1] neg_lo:[1,0,0] neg_hi:[1,0,0]
	v_pk_fma_f32 v[30:31], v[86:87], s[16:17], v[94:95]
	v_pk_fma_f32 v[32:33], v[88:89], s[14:15], v[58:59]
	v_pk_add_f32 v[30:31], v[30:31], v[110:111]
	v_pk_fma_f32 v[32:33], v[90:91], s[2:3], v[32:33] op_sel_hi:[1,0,1]
	v_mov_b32_e32 v98, 3
	ds_read2_b64 v[52:55], v77 offset0:68 offset1:112
	v_pk_add_f32 v[114:115], v[30:31], v[32:33]
	v_pk_add_f32 v[116:117], v[30:31], v[32:33] neg_lo:[0,1] neg_hi:[0,1]
	v_mul_u32_u24_e32 v4, 0x2a0, v118
	v_lshlrev_b32_sdwa v38, v98, v119 dst_sel:DWORD dst_unused:UNUSED_PAD src0_sel:DWORD src1_sel:BYTE_0
	v_add3_u32 v124, 0, v4, v38
	v_mov_b32_e32 v118, v114
	v_mov_b32_e32 v119, v117
	s_waitcnt vmcnt(3)
	v_mov_b32_e32 v4, v17
	ds_read2_b64 v[30:33], v71 offset0:60 offset1:104
	s_waitcnt lgkmcnt(0)
	; wave barrier
	s_waitcnt lgkmcnt(0)
	ds_write2_b64 v124, v[92:93], v[118:119] offset1:12
	v_pk_mul_f32 v[92:93], v[34:35], v[4:5] op_sel:[1,0] op_sel_hi:[0,1]
	s_waitcnt vmcnt(2)
	v_mov_b32_e32 v4, v49
	v_pk_fma_f32 v[92:93], v[34:35], v[16:17], v[92:93]
	v_pk_mul_f32 v[16:17], v[34:35], v[16:17] op_sel:[1,0] op_sel_hi:[0,1]
	v_pk_mul_f32 v[34:35], v[36:37], v[4:5] op_sel:[1,0] op_sel_hi:[0,1]
	v_mov_b32_e32 v4, v51
	v_pk_fma_f32 v[34:35], v[36:37], v[48:49], v[34:35]
	v_pk_mul_f32 v[36:37], v[36:37], v[48:49] op_sel:[1,0] op_sel_hi:[0,1]
	v_pk_mul_f32 v[48:49], v[54:55], v[4:5] op_sel:[1,0] op_sel_hi:[0,1]
	v_mov_b32_e32 v4, v11
	v_pk_fma_f32 v[48:49], v[54:55], v[50:51], v[48:49]
	v_pk_mul_f32 v[50:51], v[54:55], v[50:51] op_sel:[1,0] op_sel_hi:[0,1]
	v_pk_mul_f32 v[54:55], v[52:53], v[4:5] op_sel:[1,0] op_sel_hi:[0,1]
	v_pk_fma_f32 v[54:55], v[52:53], v[10:11], v[54:55]
	v_pk_mul_f32 v[10:11], v[52:53], v[10:11] op_sel:[1,0] op_sel_hi:[0,1]
	s_waitcnt vmcnt(0)
	v_mov_b32_e32 v4, v45
	v_mov_b32_e32 v52, v16
	;; [unrolled: 1-line block ×4, first 2 shown]
	v_pk_mul_f32 v[16:17], v[24:25], v[4:5] op_sel:[1,0] op_sel_hi:[0,1]
	v_mov_b32_e32 v4, v47
	v_pk_add_f32 v[10:11], v[52:53], v[10:11] neg_lo:[0,1] neg_hi:[0,1]
	v_pk_mul_f32 v[52:53], v[20:21], v[4:5] op_sel:[1,0] op_sel_hi:[0,1]
	v_mov_b32_e32 v4, v41
	v_pk_fma_f32 v[16:17], v[24:25], v[44:45], v[16:17]
	v_pk_fma_f32 v[52:53], v[20:21], v[46:47], v[52:53]
	v_pk_mul_f32 v[24:25], v[24:25], v[44:45] op_sel:[1,0] op_sel_hi:[0,1]
	v_pk_mul_f32 v[20:21], v[20:21], v[46:47] op_sel:[1,0] op_sel_hi:[0,1]
	;; [unrolled: 1-line block ×3, first 2 shown]
	v_mov_b32_e32 v4, v43
	v_pk_mul_f32 v[46:47], v[28:29], v[40:41]
	v_pk_mul_f32 v[28:29], v[28:29], v[40:41] op_sel:[1,0] op_sel_hi:[0,1]
	v_pk_mul_f32 v[40:41], v[32:33], v[42:43]
	v_pk_mul_f32 v[42:43], v[32:33], v[42:43] op_sel:[1,0] op_sel_hi:[0,1]
	v_mov_b32_e32 v118, v20
	v_mov_b32_e32 v119, v36
	v_mov_b32_e32 v36, v21
	v_pk_mul_f32 v[32:33], v[32:33], v[4:5] op_sel:[1,0] op_sel_hi:[0,1]
	v_pk_add_f32 v[20:21], v[118:119], v[36:37] neg_lo:[0,1] neg_hi:[0,1]
	v_pk_mul_f32 v[36:37], v[26:27], v[18:19] op_sel:[1,0] op_sel_hi:[0,1]
	v_pk_mul_f32 v[118:119], v[30:31], v[14:15] op_sel:[1,0] op_sel_hi:[0,1]
	v_mov_b32_e32 v41, v16
	v_mov_b32_e32 v33, v48
	;; [unrolled: 1-line block ×7, first 2 shown]
	v_pk_add_f32 v[32:33], v[40:41], v[32:33]
	v_pk_add_f32 v[40:41], v[46:47], v[44:45]
	v_pk_add_f32 v[36:37], v[120:121], v[36:37] neg_lo:[0,1] neg_hi:[0,1]
	v_pk_mul_f32 v[118:119], v[22:23], v[12:13] op_sel:[1,0] op_sel_hi:[0,1]
	v_pk_mul_f32 v[120:121], v[6:7], v[8:9] op_sel:[1,0] op_sel_hi:[0,1]
	v_mov_b32_e32 v44, v28
	v_mov_b32_e32 v45, v24
	;; [unrolled: 1-line block ×11, first 2 shown]
	v_pk_add_f32 v[24:25], v[44:45], v[24:25] neg_lo:[0,1] neg_hi:[0,1]
	v_pk_add_f32 v[28:29], v[28:29], v[50:51] neg_lo:[0,1] neg_hi:[0,1]
	;; [unrolled: 1-line block ×4, first 2 shown]
	v_mov_b32_e32 v38, v21
	v_mov_b32_e32 v42, v28
	;; [unrolled: 1-line block ×3, first 2 shown]
	v_pk_add_f32 v[46:47], v[24:25], v[28:29]
	v_mov_b32_e32 v25, v29
	v_pk_add_f32 v[28:29], v[52:53], v[34:35] neg_lo:[0,1] neg_hi:[0,1]
	v_mov_b32_e32 v4, v17
	v_pk_add_f32 v[120:121], v[36:37], v[118:119]
	v_pk_add_f32 v[36:37], v[36:37], v[118:119] neg_lo:[0,1] neg_hi:[0,1]
	v_pk_add_f32 v[118:119], v[20:21], v[38:39]
	v_pk_add_f32 v[20:21], v[20:21], v[38:39] neg_lo:[0,1] neg_hi:[0,1]
	v_pk_add_f32 v[24:25], v[42:43], v[24:25] neg_lo:[0,1] neg_hi:[0,1]
	v_pk_add_f32 v[34:35], v[4:5], v[28:29]
	v_mov_b32_e32 v43, v28
	v_mov_b32_e32 v42, v34
	v_add_f32_e32 v4, v24, v20
	v_pk_add_f32 v[34:35], v[16:17], v[34:35]
	v_pk_add_f32 v[42:43], v[16:17], v[42:43] neg_lo:[0,1] neg_hi:[0,1]
	v_add_f32_e32 v55, v4, v25
	v_sub_f32_e32 v4, v28, v16
	v_mov_b32_e32 v28, v16
	v_mov_b32_e32 v29, v118
	;; [unrolled: 1-line block ×5, first 2 shown]
	v_pk_add_f32 v[48:49], v[40:41], v[32:33]
	v_pk_add_f32 v[16:17], v[28:29], v[16:17] neg_lo:[0,1] neg_hi:[0,1]
	v_pk_add_f32 v[28:29], v[46:47], v[118:119] neg_lo:[0,1] neg_hi:[0,1]
	v_mov_b32_e32 v35, v43
	v_mov_b32_e32 v21, v41
	;; [unrolled: 1-line block ×4, first 2 shown]
	v_pk_mul_f32 v[28:29], v[28:29], s[6:7]
	v_pk_add_f32 v[40:41], v[24:25], v[20:21] neg_lo:[0,1] neg_hi:[0,1]
	v_pk_add_f32 v[24:25], v[32:33], v[24:25] neg_lo:[0,1] neg_hi:[0,1]
	;; [unrolled: 1-line block ×3, first 2 shown]
	v_pk_mul_f32 v[32:33], v[34:35], s[2:3]
	v_mul_f32_e32 v34, 0xbf5ff5aa, v4
	v_mov_b32_e32 v35, v29
	v_pk_mul_f32 v[42:43], v[16:17], s[18:19]
	v_pk_fma_f32 v[16:17], v[16:17], s[18:19], v[34:35] neg_lo:[1,0,1] neg_hi:[1,0,1]
	v_pk_mul_f32 v[24:25], v[24:25], s[8:9]
	s_mov_b32 s18, s3
	s_mov_b32 s19, s6
	v_pk_mul_f32 v[20:21], v[20:21], s[12:13]
	v_mov_b32_e32 v35, v43
	v_mov_b32_e32 v43, v29
	v_mov_b32_e32 v29, v28
	v_mov_b32_e32 v28, v33
	v_pk_fma_f32 v[50:51], v[40:41], s[18:19], v[24:25]
	v_pk_fma_f32 v[122:123], v[40:41], s[18:19], v[20:21] neg_lo:[1,0,0] neg_hi:[1,0,0]
	v_mov_b32_e32 v40, v20
	v_mov_b32_e32 v41, v25
	;; [unrolled: 1-line block ×3, first 2 shown]
	v_pk_add_f32 v[34:35], v[34:35], v[28:29] neg_lo:[0,1] neg_hi:[0,1]
	v_pk_add_f32 v[28:29], v[28:29], v[42:43]
	v_pk_add_f32 v[20:21], v[40:41], v[24:25] neg_lo:[1,1] neg_hi:[1,1]
	v_mov_b32_e32 v56, v99
	v_pk_mul_f32 v[40:41], v[88:89], s[14:15]
	v_pk_mul_f32 v[42:43], v[86:87], s[16:17]
	v_mov_b32_e32 v4, v39
	v_pk_add_f32 v[24:25], v[112:113], v[96:97] neg_lo:[0,1] neg_hi:[0,1]
	v_pk_add_f32 v[4:5], v[56:57], v[4:5] neg_lo:[0,1] neg_hi:[0,1]
	s_mov_b32 s14, s13
	v_mov_b32_e32 v38, v42
	v_mov_b32_e32 v39, v95
	;; [unrolled: 1-line block ×6, first 2 shown]
	v_pk_fma_f32 v[38:39], v[4:5], s[14:15], v[38:39] op_sel_hi:[1,0,1] neg_lo:[1,0,1] neg_hi:[1,0,1]
	v_pk_fma_f32 v[44:45], v[24:25], s[12:13], v[44:45] op_sel_hi:[1,0,1] neg_lo:[1,0,1] neg_hi:[1,0,1]
	;; [unrolled: 1-line block ×4, first 2 shown]
	v_pk_add_f32 v[38:39], v[38:39], v[110:111]
	v_pk_fma_f32 v[44:45], v[90:91], s[2:3], v[44:45] op_sel_hi:[1,0,1]
	v_pk_add_f32 v[4:5], v[4:5], v[110:111]
	v_pk_fma_f32 v[24:25], v[90:91], s[2:3], v[24:25] op_sel_hi:[1,0,1]
	v_pk_add_f32 v[52:53], v[38:39], v[44:45]
	v_pk_add_f32 v[38:39], v[38:39], v[44:45] neg_lo:[0,1] neg_hi:[0,1]
	v_pk_add_f32 v[86:87], v[4:5], v[24:25] neg_lo:[0,1] neg_hi:[0,1]
	v_pk_add_f32 v[4:5], v[4:5], v[24:25]
	v_mov_b32_e32 v44, v52
	v_mov_b32_e32 v45, v39
	;; [unrolled: 1-line block ×6, first 2 shown]
	ds_write2_b64 v124, v[44:45], v[24:25] offset0:24 offset1:36
	ds_write2_b64 v124, v[4:5], v[38:39] offset0:48 offset1:60
	v_mov_b32_e32 v25, v22
	v_mov_b32_e32 v39, v12
	;; [unrolled: 1-line block ×4, first 2 shown]
	v_pk_mul_f32 v[12:13], v[22:23], v[12:13]
	v_mov_b32_e32 v19, v30
	v_mov_b32_e32 v23, v14
	;; [unrolled: 1-line block ×8, first 2 shown]
	v_pk_mul_f32 v[6:7], v[30:31], v[14:15]
	v_mov_b32_e32 v33, v118
	v_mul_f32_e32 v58, 0xbee1c552, v55
	v_mul_u32_u24_e32 v4, 0x2a0, v83
	v_lshlrev_b32_sdwa v5, v98, v109 dst_sel:DWORD dst_unused:UNUSED_PAD src0_sel:DWORD src1_sel:BYTE_0
	v_mov_b32_e32 v93, v10
	v_mov_b32_e32 v55, v11
	v_pk_fma_f32 v[12:13], v[24:25], v[38:39], v[12:13]
	v_pk_fma_f32 v[6:7], v[18:19], v[22:23], v[6:7]
	v_pk_add_f32 v[56:57], v[32:33], v[46:47]
	v_add3_u32 v33, 0, v4, v5
	v_pk_add_f32 v[4:5], v[92:93], v[54:55]
	v_pk_add_f32 v[8:9], v[12:13], v[6:7]
	v_mov_b32_e32 v23, v4
	v_mov_b32_e32 v22, v9
	;; [unrolled: 1-line block ×4, first 2 shown]
	v_pk_add_f32 v[22:23], v[22:23], v[8:9] neg_lo:[0,1] neg_hi:[0,1]
	v_pk_add_f32 v[26:27], v[24:25], v[4:5]
	v_mov_b32_e32 v8, v9
	v_mov_b32_e32 v9, v120
	v_pk_add_f32 v[8:9], v[8:9], v[26:27]
	v_pk_mul_f32 v[26:27], v[22:23], s[6:7]
	v_mov_b32_e32 v14, v7
	v_mov_b32_e32 v15, v12
	;; [unrolled: 1-line block ×5, first 2 shown]
	v_pk_add_f32 v[6:7], v[14:15], v[12:13] neg_lo:[0,1] neg_hi:[0,1]
	v_pk_fma_f32 v[22:23], v[22:23], s[6:7], v[38:39]
	v_mov_b32_e32 v38, v10
	v_mov_b32_e32 v39, v92
	;; [unrolled: 1-line block ×6, first 2 shown]
	v_pk_add_f32 v[10:11], v[38:39], v[10:11] neg_lo:[0,1] neg_hi:[0,1]
	v_add_f32_e32 v6, v6, v7
	v_pk_add_f32 v[42:43], v[36:37], v[40:41]
	v_add_f32_e32 v6, v6, v11
	v_mov_b32_e32 v40, v42
	v_mov_b32_e32 v41, v36
	v_mul_f32_e32 v38, 0xbee1c552, v6
	v_mov_b32_e32 v6, v37
	v_mov_b32_e32 v14, v7
	v_pk_add_f32 v[44:45], v[6:7], v[10:11] neg_lo:[0,1] neg_hi:[0,1]
	v_pk_add_f32 v[6:7], v[10:11], v[42:43]
	v_pk_add_f32 v[40:41], v[10:11], v[40:41] op_sel_hi:[0,1] neg_lo:[0,1] neg_hi:[0,1]
	v_mov_b32_e32 v13, v120
	v_mov_b32_e32 v7, v41
	s_mov_b32 s3, s8
	v_pk_add_f32 v[24:25], v[24:25], v[4:5] neg_lo:[0,1] neg_hi:[0,1]
	v_mov_b32_e32 v4, v11
	v_sub_f32_e32 v88, v36, v37
	v_mov_b32_e32 v15, v121
	v_pk_mul_f32 v[40:41], v[6:7], s[2:3]
	v_pk_add_f32 v[4:5], v[4:5], v[12:13] neg_lo:[0,1] neg_hi:[0,1]
	v_pk_add_f32 v[14:15], v[12:13], v[14:15] neg_lo:[0,1] neg_hi:[0,1]
	v_pk_add_f32 v[30:31], v[8:9], v[84:85]
	v_fmamk_f32 v6, v88, 0x3f08b237, v41
	v_pk_mul_f32 v[4:5], v[4:5], s[8:9]
	v_pk_mul_f32 v[18:19], v[14:15], s[18:19]
	v_add_f32_e32 v10, v40, v6
	v_pk_fma_f32 v[8:9], v[8:9], s[10:11], v[30:31] op_sel_hi:[1,0,1] neg_lo:[1,0,0] neg_hi:[1,0,0]
	v_mov_b32_e32 v6, v27
	v_mov_b32_e32 v7, v5
	v_pk_fma_f32 v[12:13], v[14:15], s[18:19], v[4:5]
	v_mov_b32_e32 v14, v41
	v_mov_b32_e32 v15, v4
	v_pk_fma_f32 v[6:7], v[24:25], s[14:15], v[6:7] op_sel_hi:[1,0,1] neg_lo:[1,0,1] neg_hi:[1,0,1]
	v_pk_fma_f32 v[4:5], v[44:45], s[12:13], v[14:15] op_sel_hi:[1,0,1] neg_lo:[1,0,1] neg_hi:[1,0,1]
	v_mov_b32_e32 v39, v9
	v_mov_b32_e32 v41, v38
	v_pk_add_f32 v[6:7], v[6:7], v[8:9]
	v_pk_add_f32 v[12:13], v[38:39], v[12:13]
	;; [unrolled: 1-line block ×3, first 2 shown]
	v_mul_f32_e32 v36, 0x3f08b237, v88
	v_pk_add_f32 v[22:23], v[22:23], v[8:9]
	v_pk_add_f32 v[4:5], v[6:7], v[14:15]
	v_pk_add_f32 v[42:43], v[6:7], v[14:15] neg_lo:[0,1] neg_hi:[0,1]
	v_mov_b32_e32 v15, v12
	v_mov_b32_e32 v37, v18
	;; [unrolled: 1-line block ×5, first 2 shown]
	v_pk_add_f32 v[12:13], v[12:13], v[14:15] neg_lo:[0,1] neg_hi:[0,1]
	v_pk_fma_f32 v[14:15], v[44:45], s[12:13], v[36:37] op_sel_hi:[1,0,1] neg_lo:[0,0,1] neg_hi:[0,0,1]
	v_pk_fma_f32 v[18:19], v[24:25], s[14:15], v[26:27] op_sel_hi:[1,0,1] neg_lo:[0,0,1] neg_hi:[0,0,1]
	v_pk_add_f32 v[6:7], v[10:11], v[22:23]
	v_pk_add_f32 v[14:15], v[40:41], v[14:15]
	;; [unrolled: 1-line block ×3, first 2 shown]
	v_mov_b32_e32 v117, v115
	v_mov_b32_e32 v12, v6
	v_pk_add_f32 v[52:53], v[8:9], v[14:15] neg_lo:[0,1] neg_hi:[0,1]
	v_pk_add_f32 v[40:41], v[8:9], v[14:15]
	ds_write_b64 v124, v[116:117] offset:576
	ds_write2_b64 v33, v[30:31], v[12:13] offset1:12
	v_mov_b32_e32 v12, v4
	v_mov_b32_e32 v13, v43
	v_mov_b32_e32 v8, v52
	v_mov_b32_e32 v9, v41
	ds_write2_b64 v33, v[12:13], v[8:9] offset0:24 offset1:36
	v_mov_b32_e32 v8, v48
	v_mov_b32_e32 v9, v46
	;; [unrolled: 1-line block ×3, first 2 shown]
	v_pk_add_f32 v[44:45], v[22:23], v[10:11] neg_lo:[0,1] neg_hi:[0,1]
	v_pk_add_f32 v[10:11], v[8:9], v[56:57]
	v_mov_b32_e32 v41, v53
	v_mov_b32_e32 v43, v5
	v_mov_b32_e32 v45, v7
	v_pk_add_f32 v[8:9], v[10:11], v[0:1]
	ds_write2_b64 v33, v[40:41], v[42:43] offset0:48 offset1:60
	ds_write_b64 v33, v[44:45] offset:576
	v_fmamk_f32 v59, v10, 0xbf955555, v8
	v_fmamk_f32 v33, v11, 0xbf955555, v9
	v_pk_add_f32 v[0:1], v[58:59], v[50:51]
	v_pk_add_f32 v[18:19], v[58:59], v[122:123]
	;; [unrolled: 1-line block ×6, first 2 shown]
	v_mov_b32_e32 v20, v0
	v_mov_b32_e32 v21, v11
	;; [unrolled: 1-line block ×11, first 2 shown]
	v_mul_u32_u24_e32 v4, 0x2a0, v79
	v_lshlrev_b32_sdwa v6, v98, v81 dst_sel:DWORD dst_unused:UNUSED_PAD src0_sel:DWORD src1_sel:BYTE_0
	v_pk_add_f32 v[46:47], v[20:21], v[0:1]
	v_pk_add_f32 v[10:11], v[20:21], v[0:1] neg_lo:[0,1] neg_hi:[0,1]
	v_pk_add_f32 v[48:49], v[22:23], v[24:25]
	v_pk_add_f32 v[12:13], v[22:23], v[24:25] neg_lo:[0,1] neg_hi:[0,1]
	v_pk_add_f32 v[14:15], v[16:17], v[18:19] neg_lo:[0,1] neg_hi:[0,1]
	v_pk_add_f32 v[50:51], v[16:17], v[18:19]
	v_pk_add_f32 v[16:17], v[18:19], v[16:17] neg_lo:[0,1] neg_hi:[0,1]
	v_pk_add_f32 v[18:19], v[24:25], v[22:23] neg_lo:[0,1] neg_hi:[0,1]
	;; [unrolled: 1-line block ×3, first 2 shown]
	v_add3_u32 v4, 0, v4, v6
	v_mov_b32_e32 v10, v46
	v_mov_b32_e32 v12, v48
	;; [unrolled: 1-line block ×6, first 2 shown]
	ds_write2_b64 v4, v[8:9], v[10:11] offset1:12
	ds_write2_b64 v4, v[12:13], v[14:15] offset0:24 offset1:36
	ds_write2_b64 v4, v[16:17], v[18:19] offset0:48 offset1:60
	ds_write_b64 v4, v[0:1] offset:576
	s_waitcnt lgkmcnt(0)
	; wave barrier
	s_waitcnt lgkmcnt(0)
	ds_read2_b64 v[20:23], v100 offset1:84
	ds_read2_b64 v[36:39], v100 offset0:168 offset1:252
	ds_read2_b64 v[32:35], v73 offset0:80 offset1:164
	ds_read2_b64 v[28:31], v75 offset0:120 offset1:204
	ds_read2_b64 v[24:27], v71 offset0:160 offset1:244
	ds_read_b64 v[54:55], v100 offset:6720
	v_cmp_gt_u32_e64 s[2:3], 40, v60
	s_and_saveexec_b64 s[6:7], s[2:3]
	s_cbranch_execz .LBB0_21
; %bb.20:
	ds_read_b64 v[40:41], v107
	ds_read2_b64 v[4:7], v100 offset0:128 offset1:212
	ds_read2_b64 v[8:11], v73 offset0:40 offset1:124
	;; [unrolled: 1-line block ×5, first 2 shown]
	s_waitcnt lgkmcnt(4)
	v_mov_b32_e32 v42, v4
	v_mov_b32_e32 v44, v6
	s_waitcnt lgkmcnt(3)
	v_mov_b32_e32 v46, v10
	s_waitcnt lgkmcnt(2)
	;; [unrolled: 2-line block ×4, first 2 shown]
	v_mov_b32_e32 v47, v1
	v_mov_b32_e32 v49, v19
	;; [unrolled: 1-line block ×4, first 2 shown]
.LBB0_21:
	s_or_b64 exec, exec, s[6:7]
	v_mul_u32_u24_e32 v1, 10, v60
	v_lshlrev_b32_e32 v1, 3, v1
	global_load_dwordx4 v[56:59], v1, s[4:5] offset:656
	global_load_dwordx4 v[84:87], v1, s[4:5] offset:672
	;; [unrolled: 1-line block ×5, first 2 shown]
	s_waitcnt lgkmcnt(4)
	v_mov_b32_e32 v4, v37
	s_mov_b32 s18, 0xbf0a6770
	s_mov_b32 s6, 0x3f575c64
	;; [unrolled: 1-line block ×10, first 2 shown]
	s_waitcnt lgkmcnt(0)
	; wave barrier
	s_waitcnt lgkmcnt(0)
	s_mov_b32 s34, 0x3e903f40
	s_mov_b32 s30, 0x3f7d64f0
	;; [unrolled: 1-line block ×4, first 2 shown]
	s_waitcnt vmcnt(4)
	v_mov_b32_e32 v110, v59
	v_mov_b32_e32 v111, v58
	v_pk_mul_f32 v[58:59], v[58:59], v[36:37] op_sel_hi:[1,0]
	v_pk_mul_f32 v[126:127], v[56:57], v[22:23] op_sel:[0,1]
	v_pk_fma_f32 v[128:129], v[110:111], v[4:5], v[58:59]
	v_pk_fma_f32 v[36:37], v[110:111], v[36:37], v[58:59] op_sel:[0,1,0] neg_lo:[0,0,1] neg_hi:[0,0,1]
	v_pk_fma_f32 v[110:111], v[56:57], v[22:23], v[126:127] op_sel:[0,0,1] op_sel_hi:[1,1,0]
	v_pk_fma_f32 v[22:23], v[56:57], v[22:23], v[126:127] op_sel:[0,0,1] op_sel_hi:[1,0,0] neg_lo:[1,0,0] neg_hi:[1,0,0]
	s_waitcnt vmcnt(3)
	v_pk_mul_f32 v[112:113], v[84:85], v[38:39] op_sel:[0,1]
	v_mov_b32_e32 v111, v23
	v_pk_mul_f32 v[114:115], v[86:87], v[32:33] op_sel:[0,1]
	v_pk_fma_f32 v[58:59], v[84:85], v[38:39], v[112:113] op_sel:[0,0,1] op_sel_hi:[1,1,0]
	v_pk_fma_f32 v[38:39], v[84:85], v[38:39], v[112:113] op_sel:[0,0,1] op_sel_hi:[1,0,0] neg_lo:[1,0,0] neg_hi:[1,0,0]
	v_mov_b32_e32 v129, v37
	v_pk_add_f32 v[22:23], v[110:111], v[20:21]
	s_waitcnt vmcnt(2)
	v_pk_mul_f32 v[116:117], v[88:89], v[34:35] op_sel:[0,1]
	v_pk_mul_f32 v[118:119], v[90:91], v[28:29] op_sel:[0,1]
	s_waitcnt vmcnt(1)
	v_pk_mul_f32 v[120:121], v[92:93], v[30:31] op_sel:[0,1]
	v_pk_mul_f32 v[122:123], v[94:95], v[24:25] op_sel:[0,1]
	s_waitcnt vmcnt(0)
	v_pk_mul_f32 v[124:125], v[26:27], v[96:97] op_sel:[0,1]
	v_mov_b32_e32 v6, v99
	v_pk_fma_f32 v[84:85], v[86:87], v[32:33], v[114:115] op_sel:[0,0,1] op_sel_hi:[1,1,0]
	v_pk_fma_f32 v[32:33], v[86:87], v[32:33], v[114:115] op_sel:[0,0,1] op_sel_hi:[1,0,0] neg_lo:[1,0,0] neg_hi:[1,0,0]
	v_mov_b32_e32 v59, v39
	v_pk_add_f32 v[22:23], v[22:23], v[128:129]
	v_pk_fma_f32 v[86:87], v[88:89], v[34:35], v[116:117] op_sel:[0,0,1] op_sel_hi:[1,1,0]
	v_pk_fma_f32 v[34:35], v[88:89], v[34:35], v[116:117] op_sel:[0,0,1] op_sel_hi:[1,0,0] neg_lo:[1,0,0] neg_hi:[1,0,0]
	v_pk_fma_f32 v[88:89], v[90:91], v[28:29], v[118:119] op_sel:[0,0,1] op_sel_hi:[1,1,0]
	v_pk_fma_f32 v[28:29], v[90:91], v[28:29], v[118:119] op_sel:[0,0,1] op_sel_hi:[1,0,0] neg_lo:[1,0,0] neg_hi:[1,0,0]
	;; [unrolled: 2-line block ×5, first 2 shown]
	v_pk_mul_f32 v[96:97], v[54:55], v[6:7] op_sel_hi:[1,0]
	v_mov_b32_e32 v85, v33
	v_pk_add_f32 v[22:23], v[22:23], v[58:59]
	v_mov_b32_e32 v87, v35
	v_mov_b32_e32 v93, v25
	;; [unrolled: 1-line block ×3, first 2 shown]
	v_pk_fma_f32 v[24:25], v[54:55], v[98:99], v[96:97] op_sel:[0,0,1] op_sel_hi:[1,1,0]
	v_pk_fma_f32 v[26:27], v[54:55], v[98:99], v[96:97] op_sel:[0,0,1] op_sel_hi:[1,0,0] neg_lo:[0,0,1] neg_hi:[0,0,1]
	v_pk_add_f32 v[22:23], v[22:23], v[84:85]
	v_mov_b32_e32 v89, v29
	v_mov_b32_e32 v25, v27
	v_pk_add_f32 v[22:23], v[22:23], v[86:87]
	v_mov_b32_e32 v91, v31
	v_pk_add_f32 v[54:55], v[110:111], v[24:25] neg_lo:[0,1] neg_hi:[0,1]
	v_pk_add_f32 v[22:23], v[22:23], v[88:89]
	v_pk_add_f32 v[28:29], v[128:129], v[94:95] neg_lo:[0,1] neg_hi:[0,1]
	v_pk_add_f32 v[30:31], v[58:59], v[92:93]
	;; [unrolled: 2-line block ×3, first 2 shown]
	v_pk_mul_f32 v[58:59], v[54:55], s[18:19] op_sel_hi:[1,0]
	v_pk_add_f32 v[22:23], v[22:23], v[90:91]
	v_pk_add_f32 v[26:27], v[128:129], v[94:95]
	;; [unrolled: 1-line block ×3, first 2 shown]
	v_pk_add_f32 v[36:37], v[84:85], v[90:91] neg_lo:[0,1] neg_hi:[0,1]
	v_pk_mul_f32 v[56:57], v[28:29], s[20:21] op_sel_hi:[1,0]
	v_pk_fma_f32 v[84:85], v[38:39], s[6:7], v[58:59] op_sel:[0,0,1] op_sel_hi:[1,0,0]
	v_pk_fma_f32 v[58:59], v[38:39], s[6:7], v[58:59] op_sel:[0,0,1] op_sel_hi:[1,0,0] neg_lo:[0,0,1] neg_hi:[0,0,1]
	v_pk_add_f32 v[22:23], v[22:23], v[92:93]
	v_pk_mul_f32 v[96:97], v[32:33], s[12:13] op_sel_hi:[1,0]
	v_pk_fma_f32 v[98:99], v[26:27], s[8:9], v[56:57] op_sel:[0,0,1] op_sel_hi:[1,0,0]
	v_pk_fma_f32 v[56:57], v[26:27], s[8:9], v[56:57] op_sel:[0,0,1] op_sel_hi:[1,0,0] neg_lo:[0,0,1] neg_hi:[0,0,1]
	v_mov_b32_e32 v116, v84
	v_mov_b32_e32 v117, v59
	v_pk_add_f32 v[22:23], v[22:23], v[94:95]
	v_pk_fma_f32 v[110:111], v[30:31], s[10:11], v[96:97] op_sel:[0,0,1] op_sel_hi:[1,0,0]
	v_pk_fma_f32 v[96:97], v[30:31], s[10:11], v[96:97] op_sel:[0,0,1] op_sel_hi:[1,0,0] neg_lo:[0,0,1] neg_hi:[0,0,1]
	v_mov_b32_e32 v112, v98
	v_mov_b32_e32 v113, v57
	v_pk_add_f32 v[116:117], v[116:117], v[20:21]
	v_pk_add_f32 v[22:23], v[22:23], v[24:25]
	v_pk_mul_f32 v[24:25], v[36:37], s[16:17] op_sel_hi:[1,0]
	v_mov_b32_e32 v114, v110
	v_mov_b32_e32 v115, v97
	v_pk_add_f32 v[90:91], v[112:113], v[116:117]
	v_pk_fma_f32 v[92:93], v[34:35], s[14:15], v[24:25] op_sel:[0,0,1] op_sel_hi:[1,0,0]
	v_pk_fma_f32 v[24:25], v[34:35], s[14:15], v[24:25] op_sel:[0,0,1] op_sel_hi:[1,0,0] neg_lo:[0,0,1] neg_hi:[0,0,1]
	v_pk_add_f32 v[90:91], v[114:115], v[90:91]
	v_mov_b32_e32 v94, v92
	v_mov_b32_e32 v95, v25
	v_pk_add_f32 v[90:91], v[94:95], v[90:91]
	v_pk_add_f32 v[94:95], v[86:87], v[88:89]
	v_pk_add_f32 v[86:87], v[86:87], v[88:89] neg_lo:[0,1] neg_hi:[0,1]
	v_pk_mul_f32 v[116:117], v[28:29], s[16:17] op_sel_hi:[1,0]
	v_pk_mul_f32 v[88:89], v[86:87], s[24:25] op_sel_hi:[1,0]
	v_pk_fma_f32 v[118:119], v[26:27], s[14:15], v[116:117] op_sel:[0,0,1] op_sel_hi:[1,0,0]
	v_pk_fma_f32 v[112:113], v[94:95], s[22:23], v[88:89] op_sel:[0,0,1] op_sel_hi:[1,0,0]
	v_pk_fma_f32 v[88:89], v[94:95], s[22:23], v[88:89] op_sel:[0,0,1] op_sel_hi:[1,0,0] neg_lo:[0,0,1] neg_hi:[0,0,1]
	v_mov_b32_e32 v114, v112
	v_mov_b32_e32 v115, v89
	v_pk_add_f32 v[90:91], v[114:115], v[90:91]
	ds_write2_b64 v100, v[22:23], v[90:91] offset1:84
	v_pk_mul_f32 v[22:23], v[54:55], s[20:21] op_sel_hi:[1,0]
	v_pk_fma_f32 v[116:117], v[26:27], s[14:15], v[116:117] op_sel:[0,0,1] op_sel_hi:[1,0,0] neg_lo:[0,0,1] neg_hi:[0,0,1]
	v_pk_fma_f32 v[90:91], v[38:39], s[8:9], v[22:23] op_sel:[0,0,1] op_sel_hi:[1,0,0]
	v_pk_fma_f32 v[22:23], v[38:39], s[8:9], v[22:23] op_sel:[0,0,1] op_sel_hi:[1,0,0] neg_lo:[0,0,1] neg_hi:[0,0,1]
	v_mov_b32_e32 v114, v90
	v_mov_b32_e32 v115, v23
	v_pk_add_f32 v[114:115], v[114:115], v[20:21]
	v_mov_b32_e32 v120, v118
	v_mov_b32_e32 v121, v117
	v_pk_add_f32 v[114:115], v[120:121], v[114:115]
	v_pk_mul_f32 v[120:121], v[32:33], s[34:35] op_sel_hi:[1,0]
	v_pk_mul_f32 v[138:139], v[28:29], s[34:35] op_sel_hi:[1,0]
	v_pk_fma_f32 v[122:123], v[30:31], s[22:23], v[120:121] op_sel:[0,0,1] op_sel_hi:[1,0,0]
	v_pk_fma_f32 v[120:121], v[30:31], s[22:23], v[120:121] op_sel:[0,0,1] op_sel_hi:[1,0,0] neg_lo:[0,0,1] neg_hi:[0,0,1]
	v_mov_b32_e32 v124, v122
	v_mov_b32_e32 v125, v121
	v_pk_add_f32 v[114:115], v[124:125], v[114:115]
	v_pk_mul_f32 v[124:125], v[36:37], s[30:31] op_sel_hi:[1,0]
	v_pk_fma_f32 v[140:141], v[26:27], s[22:23], v[138:139] op_sel:[0,0,1] op_sel_hi:[1,0,0]
	v_pk_fma_f32 v[126:127], v[34:35], s[10:11], v[124:125] op_sel:[0,0,1] op_sel_hi:[1,0,0]
	v_pk_fma_f32 v[124:125], v[34:35], s[10:11], v[124:125] op_sel:[0,0,1] op_sel_hi:[1,0,0] neg_lo:[0,0,1] neg_hi:[0,0,1]
	v_mov_b32_e32 v128, v126
	v_mov_b32_e32 v129, v125
	v_pk_add_f32 v[114:115], v[128:129], v[114:115]
	v_pk_mul_f32 v[128:129], v[86:87], s[26:27] op_sel_hi:[1,0]
	v_pk_fma_f32 v[138:139], v[26:27], s[22:23], v[138:139] op_sel:[0,0,1] op_sel_hi:[1,0,0] neg_lo:[0,0,1] neg_hi:[0,0,1]
	v_pk_fma_f32 v[130:131], v[94:95], s[6:7], v[128:129] op_sel:[0,0,1] op_sel_hi:[1,0,0]
	v_pk_fma_f32 v[128:129], v[94:95], s[6:7], v[128:129] op_sel:[0,0,1] op_sel_hi:[1,0,0] neg_lo:[0,0,1] neg_hi:[0,0,1]
	v_mov_b32_e32 v132, v130
	v_mov_b32_e32 v133, v129
	v_pk_add_f32 v[114:115], v[132:133], v[114:115]
	v_pk_mul_f32 v[132:133], v[54:55], s[12:13] op_sel_hi:[1,0]
	v_mov_b32_e32 v142, v140
	v_pk_fma_f32 v[134:135], v[38:39], s[10:11], v[132:133] op_sel:[0,0,1] op_sel_hi:[1,0,0]
	v_pk_fma_f32 v[132:133], v[38:39], s[10:11], v[132:133] op_sel:[0,0,1] op_sel_hi:[1,0,0] neg_lo:[0,0,1] neg_hi:[0,0,1]
	v_mov_b32_e32 v136, v134
	v_mov_b32_e32 v137, v133
	v_pk_add_f32 v[136:137], v[136:137], v[20:21]
	v_mov_b32_e32 v143, v139
	v_pk_add_f32 v[136:137], v[142:143], v[136:137]
	v_pk_mul_f32 v[142:143], v[32:33], s[28:29] op_sel_hi:[1,0]
	v_pk_mul_f32 v[156:157], v[28:29], s[30:31] op_sel_hi:[1,0]
	v_pk_fma_f32 v[144:145], v[30:31], s[8:9], v[142:143] op_sel:[0,0,1] op_sel_hi:[1,0,0]
	v_pk_fma_f32 v[142:143], v[30:31], s[8:9], v[142:143] op_sel:[0,0,1] op_sel_hi:[1,0,0] neg_lo:[0,0,1] neg_hi:[0,0,1]
	v_mov_b32_e32 v146, v144
	v_mov_b32_e32 v147, v143
	v_pk_add_f32 v[136:137], v[146:147], v[136:137]
	v_pk_mul_f32 v[146:147], v[36:37], s[18:19] op_sel_hi:[1,0]
	v_pk_fma_f32 v[158:159], v[26:27], s[10:11], v[156:157] op_sel:[0,0,1] op_sel_hi:[1,0,0]
	v_pk_fma_f32 v[148:149], v[34:35], s[6:7], v[146:147] op_sel:[0,0,1] op_sel_hi:[1,0,0]
	v_pk_fma_f32 v[146:147], v[34:35], s[6:7], v[146:147] op_sel:[0,0,1] op_sel_hi:[1,0,0] neg_lo:[0,0,1] neg_hi:[0,0,1]
	v_mov_b32_e32 v150, v148
	v_mov_b32_e32 v151, v147
	v_pk_add_f32 v[136:137], v[150:151], v[136:137]
	v_pk_mul_f32 v[150:151], v[86:87], s[16:17] op_sel_hi:[1,0]
	v_pk_fma_f32 v[156:157], v[26:27], s[10:11], v[156:157] op_sel:[0,0,1] op_sel_hi:[1,0,0] neg_lo:[0,0,1] neg_hi:[0,0,1]
	v_pk_fma_f32 v[152:153], v[94:95], s[14:15], v[150:151] op_sel:[0,0,1] op_sel_hi:[1,0,0]
	v_pk_fma_f32 v[150:151], v[94:95], s[14:15], v[150:151] op_sel:[0,0,1] op_sel_hi:[1,0,0] neg_lo:[0,0,1] neg_hi:[0,0,1]
	v_mov_b32_e32 v154, v152
	v_mov_b32_e32 v155, v151
	v_pk_add_f32 v[136:137], v[154:155], v[136:137]
	ds_write2_b64 v100, v[114:115], v[136:137] offset0:168 offset1:252
	v_pk_mul_f32 v[114:115], v[54:55], s[16:17] op_sel_hi:[1,0]
	v_mov_b32_e32 v160, v158
	v_pk_fma_f32 v[136:137], v[38:39], s[14:15], v[114:115] op_sel:[0,0,1] op_sel_hi:[1,0,0]
	v_pk_fma_f32 v[114:115], v[38:39], s[14:15], v[114:115] op_sel:[0,0,1] op_sel_hi:[1,0,0] neg_lo:[0,0,1] neg_hi:[0,0,1]
	v_mov_b32_e32 v154, v136
	v_mov_b32_e32 v155, v115
	v_pk_add_f32 v[154:155], v[154:155], v[20:21]
	v_mov_b32_e32 v161, v157
	v_pk_add_f32 v[154:155], v[160:161], v[154:155]
	v_pk_mul_f32 v[160:161], v[32:33], s[18:19] op_sel_hi:[1,0]
	v_pk_mul_f32 v[54:55], v[54:55], s[24:25] op_sel_hi:[1,0]
	v_pk_fma_f32 v[162:163], v[30:31], s[6:7], v[160:161] op_sel:[0,0,1] op_sel_hi:[1,0,0]
	v_pk_fma_f32 v[160:161], v[30:31], s[6:7], v[160:161] op_sel:[0,0,1] op_sel_hi:[1,0,0] neg_lo:[0,0,1] neg_hi:[0,0,1]
	v_mov_b32_e32 v164, v162
	v_mov_b32_e32 v165, v161
	v_pk_add_f32 v[154:155], v[164:165], v[154:155]
	v_pk_mul_f32 v[164:165], v[36:37], s[24:25] op_sel_hi:[1,0]
	v_pk_mul_f32 v[28:29], v[28:29], s[26:27] op_sel_hi:[1,0]
	v_pk_fma_f32 v[166:167], v[34:35], s[22:23], v[164:165] op_sel:[0,0,1] op_sel_hi:[1,0,0]
	v_pk_fma_f32 v[164:165], v[34:35], s[22:23], v[164:165] op_sel:[0,0,1] op_sel_hi:[1,0,0] neg_lo:[0,0,1] neg_hi:[0,0,1]
	v_mov_b32_e32 v168, v166
	v_mov_b32_e32 v169, v165
	v_pk_add_f32 v[154:155], v[168:169], v[154:155]
	v_pk_mul_f32 v[168:169], v[86:87], s[28:29] op_sel_hi:[1,0]
	v_pk_fma_f32 v[174:175], v[26:27], s[6:7], v[28:29] op_sel:[0,0,1] op_sel_hi:[1,0,0]
	v_pk_fma_f32 v[170:171], v[94:95], s[8:9], v[168:169] op_sel:[0,0,1] op_sel_hi:[1,0,0]
	v_pk_fma_f32 v[168:169], v[94:95], s[8:9], v[168:169] op_sel:[0,0,1] op_sel_hi:[1,0,0] neg_lo:[0,0,1] neg_hi:[0,0,1]
	v_mov_b32_e32 v172, v170
	v_mov_b32_e32 v173, v169
	v_pk_add_f32 v[154:155], v[172:173], v[154:155]
	v_pk_fma_f32 v[172:173], v[38:39], s[22:23], v[54:55] op_sel:[0,0,1] op_sel_hi:[1,0,0]
	v_pk_fma_f32 v[38:39], v[38:39], s[22:23], v[54:55] op_sel:[0,0,1] op_sel_hi:[1,0,0] neg_lo:[0,0,1] neg_hi:[0,0,1]
	v_mov_b32_e32 v54, v172
	v_mov_b32_e32 v55, v39
	v_pk_fma_f32 v[26:27], v[26:27], s[6:7], v[28:29] op_sel:[0,0,1] op_sel_hi:[1,0,0] neg_lo:[0,0,1] neg_hi:[0,0,1]
	v_pk_add_f32 v[54:55], v[54:55], v[20:21]
	v_mov_b32_e32 v28, v174
	v_mov_b32_e32 v29, v27
	v_pk_mul_f32 v[32:33], v[32:33], s[16:17] op_sel_hi:[1,0]
	v_pk_add_f32 v[28:29], v[28:29], v[54:55]
	v_pk_fma_f32 v[54:55], v[30:31], s[14:15], v[32:33] op_sel:[0,0,1] op_sel_hi:[1,0,0]
	v_pk_fma_f32 v[30:31], v[30:31], s[14:15], v[32:33] op_sel:[0,0,1] op_sel_hi:[1,0,0] neg_lo:[0,0,1] neg_hi:[0,0,1]
	v_mov_b32_e32 v32, v54
	v_mov_b32_e32 v33, v31
	v_pk_add_f32 v[28:29], v[32:33], v[28:29]
	v_pk_mul_f32 v[32:33], v[36:37], s[28:29] op_sel_hi:[1,0]
	v_mov_b32_e32 v39, v173
	v_pk_fma_f32 v[36:37], v[34:35], s[8:9], v[32:33] op_sel:[0,0,1] op_sel_hi:[1,0,0]
	v_pk_fma_f32 v[32:33], v[34:35], s[8:9], v[32:33] op_sel:[0,0,1] op_sel_hi:[1,0,0] neg_lo:[0,0,1] neg_hi:[0,0,1]
	v_mov_b32_e32 v34, v36
	v_mov_b32_e32 v35, v33
	v_pk_add_f32 v[28:29], v[34:35], v[28:29]
	v_pk_mul_f32 v[34:35], v[86:87], s[12:13] op_sel_hi:[1,0]
	v_mov_b32_e32 v27, v175
	v_pk_fma_f32 v[86:87], v[94:95], s[10:11], v[34:35] op_sel:[0,0,1] op_sel_hi:[1,0,0]
	v_pk_fma_f32 v[34:35], v[94:95], s[10:11], v[34:35] op_sel:[0,0,1] op_sel_hi:[1,0,0] neg_lo:[0,0,1] neg_hi:[0,0,1]
	v_mov_b32_e32 v94, v86
	v_mov_b32_e32 v95, v35
	v_pk_add_f32 v[28:29], v[94:95], v[28:29]
	ds_write2_b64 v73, v[154:155], v[28:29] offset0:80 offset1:164
	v_pk_add_f32 v[28:29], v[38:39], v[20:21]
	v_mov_b32_e32 v115, v137
	v_pk_add_f32 v[26:27], v[26:27], v[28:29]
	v_pk_add_f32 v[28:29], v[114:115], v[20:21]
	v_mov_b32_e32 v157, v159
	v_mov_b32_e32 v31, v55
	v_pk_add_f32 v[28:29], v[156:157], v[28:29]
	v_mov_b32_e32 v161, v163
	v_pk_add_f32 v[26:27], v[30:31], v[26:27]
	;; [unrolled: 2-line block ×6, first 2 shown]
	v_pk_add_f32 v[28:29], v[168:169], v[28:29]
	v_mov_b32_e32 v133, v135
	v_mov_b32_e32 v23, v91
	;; [unrolled: 1-line block ×3, first 2 shown]
	ds_write2_b64 v75, v[26:27], v[28:29] offset0:120 offset1:204
	v_pk_add_f32 v[26:27], v[132:133], v[20:21]
	v_mov_b32_e32 v139, v141
	v_pk_add_f32 v[22:23], v[22:23], v[20:21]
	v_mov_b32_e32 v117, v119
	;; [unrolled: 2-line block ×12, first 2 shown]
	v_pk_add_f32 v[26:27], v[150:151], v[26:27]
	v_pk_add_f32 v[22:23], v[128:129], v[22:23]
	;; [unrolled: 1-line block ×3, first 2 shown]
	ds_write2_b64 v71, v[26:27], v[22:23] offset0:160 offset1:244
	ds_write_b64 v100, v[20:21] offset:6720
	s_and_saveexec_b64 s[36:37], s[2:3]
	s_cbranch_execz .LBB0_23
; %bb.22:
	v_subrev_u32_e32 v1, 40, v60
	v_cndmask_b32_e64 v1, v1, v64, s[2:3]
	v_mul_i32_i24_e32 v20, 10, v1
	v_mov_b32_e32 v21, 0
	v_lshl_add_u64 v[54:55], v[20:21], 3, s[4:5]
	global_load_dwordx4 v[20:23], v[54:55], off offset:656
	global_load_dwordx4 v[24:27], v[54:55], off offset:720
	;; [unrolled: 1-line block ×5, first 2 shown]
	v_mov_b32_e32 v4, v5
	v_mov_b32_e32 v6, v3
	;; [unrolled: 1-line block ×11, first 2 shown]
	s_waitcnt vmcnt(4)
	v_pk_mul_f32 v[4:5], v[4:5], v[20:21] op_sel_hi:[0,1]
	s_waitcnt vmcnt(3)
	v_pk_mul_f32 v[6:7], v[6:7], v[26:27] op_sel_hi:[0,1]
	v_pk_mul_f32 v[12:13], v[12:13], v[24:25] op_sel_hi:[0,1]
	s_waitcnt vmcnt(2)
	v_pk_mul_f32 v[16:17], v[16:17], v[28:29] op_sel_hi:[0,1]
	s_waitcnt vmcnt(1)
	;; [unrolled: 2-line block ×3, first 2 shown]
	v_pk_mul_f32 v[84:85], v[84:85], v[38:39] op_sel_hi:[0,1]
	v_pk_mul_f32 v[10:11], v[10:11], v[22:23] op_sel_hi:[0,1]
	v_pk_fma_f32 v[86:87], v[2:3], v[26:27], v[6:7] op_sel:[0,0,1] op_sel_hi:[1,1,0]
	v_pk_fma_f32 v[2:3], v[2:3], v[26:27], v[6:7] op_sel:[0,0,1] op_sel_hi:[0,1,0] neg_lo:[1,0,0] neg_hi:[1,0,0]
	v_pk_fma_f32 v[6:7], v[0:1], v[24:25], v[12:13] op_sel:[0,0,1] op_sel_hi:[1,1,0]
	v_pk_fma_f32 v[0:1], v[0:1], v[24:25], v[12:13] op_sel:[0,0,1] op_sel_hi:[0,1,0] neg_lo:[1,0,0] neg_hi:[1,0,0]
	v_pk_fma_f32 v[24:25], v[8:9], v[28:29], v[16:17] op_sel:[0,0,1] op_sel_hi:[1,1,0]
	v_pk_fma_f32 v[8:9], v[8:9], v[28:29], v[16:17] op_sel:[0,0,1] op_sel_hi:[0,1,0] neg_lo:[1,0,0] neg_hi:[1,0,0]
	v_pk_fma_f32 v[16:17], v[50:51], v[32:33], v[56:57] op_sel:[0,0,1] op_sel_hi:[1,1,0]
	v_pk_fma_f32 v[26:27], v[50:51], v[32:33], v[56:57] op_sel:[0,0,1] op_sel_hi:[0,1,0] neg_lo:[1,0,0] neg_hi:[1,0,0]
	v_pk_fma_f32 v[32:33], v[14:15], v[38:39], v[84:85] op_sel:[0,0,1] op_sel_hi:[1,1,0]
	v_pk_fma_f32 v[14:15], v[14:15], v[38:39], v[84:85] op_sel:[0,0,1] op_sel_hi:[0,1,0] neg_lo:[1,0,0] neg_hi:[1,0,0]
	v_pk_fma_f32 v[38:39], v[42:43], v[20:21], v[4:5] op_sel:[0,0,1] op_sel_hi:[1,1,0]
	v_pk_fma_f32 v[4:5], v[42:43], v[20:21], v[4:5] op_sel:[0,0,1] op_sel_hi:[0,1,0] neg_lo:[1,0,0] neg_hi:[1,0,0]
	v_pk_fma_f32 v[12:13], v[44:45], v[22:23], v[10:11] op_sel:[0,0,1] op_sel_hi:[1,1,0]
	v_pk_fma_f32 v[10:11], v[44:45], v[22:23], v[10:11] op_sel:[0,0,1] op_sel_hi:[0,1,0] neg_lo:[1,0,0] neg_hi:[1,0,0]
	v_mov_b32_e32 v87, v3
	v_mov_b32_e32 v39, v5
	v_pk_mul_f32 v[52:53], v[52:53], v[34:35] op_sel_hi:[0,1]
	v_pk_mul_f32 v[54:55], v[54:55], v[30:31] op_sel_hi:[0,1]
	;; [unrolled: 1-line block ×3, first 2 shown]
	v_mov_b32_e32 v7, v1
	v_mov_b32_e32 v13, v11
	v_pk_add_f32 v[0:1], v[38:39], v[86:87] neg_lo:[0,1] neg_hi:[0,1]
	v_pk_add_f32 v[2:3], v[38:39], v[86:87]
	v_pk_add_f32 v[38:39], v[40:41], v[38:39]
	v_pk_fma_f32 v[22:23], v[18:19], v[34:35], v[52:53] op_sel:[0,0,1] op_sel_hi:[1,1,0]
	v_pk_fma_f32 v[18:19], v[18:19], v[34:35], v[52:53] op_sel:[0,0,1] op_sel_hi:[0,1,0] neg_lo:[1,0,0] neg_hi:[1,0,0]
	v_pk_fma_f32 v[28:29], v[46:47], v[30:31], v[54:55] op_sel:[0,0,1] op_sel_hi:[1,1,0]
	v_pk_fma_f32 v[30:31], v[46:47], v[30:31], v[54:55] op_sel:[0,0,1] op_sel_hi:[0,1,0] neg_lo:[1,0,0] neg_hi:[1,0,0]
	;; [unrolled: 2-line block ×3, first 2 shown]
	v_mov_b32_e32 v25, v9
	v_pk_add_f32 v[4:5], v[12:13], v[6:7] neg_lo:[0,1] neg_hi:[0,1]
	v_pk_add_f32 v[8:9], v[12:13], v[6:7]
	v_pk_add_f32 v[12:13], v[38:39], v[12:13]
	v_mov_b32_e32 v23, v19
	v_mov_b32_e32 v29, v31
	;; [unrolled: 1-line block ×3, first 2 shown]
	v_pk_mul_f32 v[36:37], v[0:1], s[18:19] op_sel_hi:[1,0]
	v_pk_add_f32 v[12:13], v[12:13], v[24:25]
	v_mov_b32_e32 v17, v27
	v_pk_add_f32 v[10:11], v[24:25], v[22:23] neg_lo:[0,1] neg_hi:[0,1]
	v_pk_mul_f32 v[42:43], v[4:5], s[20:21] op_sel_hi:[1,0]
	v_pk_fma_f32 v[48:49], v[2:3], s[6:7], v[36:37] op_sel:[0,0,1] op_sel_hi:[1,0,0]
	v_pk_fma_f32 v[36:37], v[2:3], s[6:7], v[36:37] op_sel:[0,0,1] op_sel_hi:[1,0,0] neg_lo:[0,0,1] neg_hi:[0,0,1]
	v_pk_add_f32 v[12:13], v[12:13], v[28:29]
	v_mov_b32_e32 v33, v15
	v_pk_add_f32 v[14:15], v[24:25], v[22:23]
	v_pk_add_f32 v[18:19], v[28:29], v[16:17] neg_lo:[0,1] neg_hi:[0,1]
	v_pk_mul_f32 v[44:45], v[10:11], s[12:13] op_sel_hi:[1,0]
	v_pk_fma_f32 v[50:51], v[8:9], s[8:9], v[42:43] op_sel:[0,0,1] op_sel_hi:[1,0,0]
	v_pk_fma_f32 v[42:43], v[8:9], s[8:9], v[42:43] op_sel:[0,0,1] op_sel_hi:[1,0,0] neg_lo:[0,0,1] neg_hi:[0,0,1]
	v_mov_b32_e32 v56, v48
	v_mov_b32_e32 v57, v37
	v_pk_add_f32 v[12:13], v[12:13], v[34:35]
	v_pk_add_f32 v[20:21], v[28:29], v[16:17]
	v_pk_add_f32 v[26:27], v[34:35], v[32:33] neg_lo:[0,1] neg_hi:[0,1]
	v_pk_mul_f32 v[46:47], v[18:19], s[16:17] op_sel_hi:[1,0]
	v_pk_fma_f32 v[52:53], v[14:15], s[10:11], v[44:45] op_sel:[0,0,1] op_sel_hi:[1,0,0]
	v_pk_fma_f32 v[44:45], v[14:15], s[10:11], v[44:45] op_sel:[0,0,1] op_sel_hi:[1,0,0] neg_lo:[0,0,1] neg_hi:[0,0,1]
	v_mov_b32_e32 v58, v50
	v_mov_b32_e32 v59, v43
	v_pk_add_f32 v[56:57], v[40:41], v[56:57]
	v_pk_add_f32 v[12:13], v[12:13], v[32:33]
	;; [unrolled: 1-line block ×3, first 2 shown]
	v_pk_fma_f32 v[54:55], v[20:21], s[14:15], v[46:47] op_sel:[0,0,1] op_sel_hi:[1,0,0]
	v_pk_fma_f32 v[46:47], v[20:21], s[14:15], v[46:47] op_sel:[0,0,1] op_sel_hi:[1,0,0] neg_lo:[0,0,1] neg_hi:[0,0,1]
	v_mov_b32_e32 v84, v52
	v_mov_b32_e32 v85, v45
	v_pk_add_f32 v[56:57], v[58:59], v[56:57]
	v_pk_mul_f32 v[58:59], v[26:27], s[24:25] op_sel_hi:[1,0]
	v_pk_add_f32 v[12:13], v[12:13], v[16:17]
	v_mov_b32_e32 v88, v54
	v_mov_b32_e32 v89, v47
	v_pk_add_f32 v[56:57], v[84:85], v[56:57]
	v_pk_fma_f32 v[84:85], v[30:31], s[22:23], v[58:59] op_sel:[0,0,1] op_sel_hi:[1,0,0]
	v_pk_fma_f32 v[58:59], v[30:31], s[22:23], v[58:59] op_sel:[0,0,1] op_sel_hi:[1,0,0] neg_lo:[0,0,1] neg_hi:[0,0,1]
	v_pk_add_f32 v[12:13], v[12:13], v[22:23]
	v_pk_add_f32 v[56:57], v[88:89], v[56:57]
	v_mov_b32_e32 v88, v84
	v_mov_b32_e32 v89, v59
	v_pk_add_f32 v[6:7], v[12:13], v[6:7]
	v_pk_add_f32 v[56:57], v[88:89], v[56:57]
	;; [unrolled: 1-line block ×3, first 2 shown]
	ds_write2_b64 v100, v[6:7], v[56:57] offset0:44 offset1:128
	v_pk_mul_f32 v[6:7], v[0:1], s[20:21] op_sel_hi:[1,0]
	v_pk_mul_f32 v[12:13], v[4:5], s[16:17] op_sel_hi:[1,0]
	v_pk_fma_f32 v[28:29], v[2:3], s[8:9], v[6:7] op_sel:[0,0,1] op_sel_hi:[1,0,0]
	v_pk_fma_f32 v[6:7], v[2:3], s[8:9], v[6:7] op_sel:[0,0,1] op_sel_hi:[1,0,0] neg_lo:[0,0,1] neg_hi:[0,0,1]
	v_mov_b32_e32 v32, v28
	v_mov_b32_e32 v33, v7
	v_pk_fma_f32 v[34:35], v[8:9], s[14:15], v[12:13] op_sel:[0,0,1] op_sel_hi:[1,0,0]
	v_pk_fma_f32 v[12:13], v[8:9], s[14:15], v[12:13] op_sel:[0,0,1] op_sel_hi:[1,0,0] neg_lo:[0,0,1] neg_hi:[0,0,1]
	v_pk_mul_f32 v[16:17], v[10:11], s[34:35] op_sel_hi:[1,0]
	v_pk_add_f32 v[32:33], v[40:41], v[32:33]
	v_mov_b32_e32 v38, v34
	v_mov_b32_e32 v39, v13
	v_pk_add_f32 v[32:33], v[38:39], v[32:33]
	v_pk_fma_f32 v[38:39], v[14:15], s[22:23], v[16:17] op_sel:[0,0,1] op_sel_hi:[1,0,0]
	v_pk_fma_f32 v[16:17], v[14:15], s[22:23], v[16:17] op_sel:[0,0,1] op_sel_hi:[1,0,0] neg_lo:[0,0,1] neg_hi:[0,0,1]
	v_pk_mul_f32 v[22:23], v[18:19], s[30:31] op_sel_hi:[1,0]
	v_mov_b32_e32 v56, v38
	v_mov_b32_e32 v57, v17
	v_pk_add_f32 v[32:33], v[56:57], v[32:33]
	v_pk_fma_f32 v[56:57], v[20:21], s[10:11], v[22:23] op_sel:[0,0,1] op_sel_hi:[1,0,0]
	v_pk_fma_f32 v[22:23], v[20:21], s[10:11], v[22:23] op_sel:[0,0,1] op_sel_hi:[1,0,0] neg_lo:[0,0,1] neg_hi:[0,0,1]
	v_pk_mul_f32 v[24:25], v[26:27], s[26:27] op_sel_hi:[1,0]
	v_mov_b32_e32 v86, v56
	v_mov_b32_e32 v87, v23
	v_pk_add_f32 v[32:33], v[86:87], v[32:33]
	v_pk_fma_f32 v[86:87], v[30:31], s[6:7], v[24:25] op_sel:[0,0,1] op_sel_hi:[1,0,0]
	v_pk_fma_f32 v[24:25], v[30:31], s[6:7], v[24:25] op_sel:[0,0,1] op_sel_hi:[1,0,0] neg_lo:[0,0,1] neg_hi:[0,0,1]
	v_mov_b32_e32 v88, v86
	v_mov_b32_e32 v89, v25
	v_pk_add_f32 v[32:33], v[88:89], v[32:33]
	v_pk_mul_f32 v[88:89], v[0:1], s[12:13] op_sel_hi:[1,0]
	v_pk_mul_f32 v[94:95], v[4:5], s[34:35] op_sel_hi:[1,0]
	v_pk_fma_f32 v[90:91], v[2:3], s[10:11], v[88:89] op_sel:[0,0,1] op_sel_hi:[1,0,0]
	v_pk_fma_f32 v[88:89], v[2:3], s[10:11], v[88:89] op_sel:[0,0,1] op_sel_hi:[1,0,0] neg_lo:[0,0,1] neg_hi:[0,0,1]
	v_mov_b32_e32 v92, v90
	v_mov_b32_e32 v93, v89
	v_pk_fma_f32 v[96:97], v[8:9], s[22:23], v[94:95] op_sel:[0,0,1] op_sel_hi:[1,0,0]
	v_pk_fma_f32 v[94:95], v[8:9], s[22:23], v[94:95] op_sel:[0,0,1] op_sel_hi:[1,0,0] neg_lo:[0,0,1] neg_hi:[0,0,1]
	v_pk_add_f32 v[92:93], v[40:41], v[92:93]
	v_mov_b32_e32 v98, v96
	v_mov_b32_e32 v99, v95
	v_pk_add_f32 v[92:93], v[98:99], v[92:93]
	v_pk_mul_f32 v[98:99], v[10:11], s[28:29] op_sel_hi:[1,0]
	v_add_u32_e32 v7, 0x400, v100
	v_pk_fma_f32 v[110:111], v[14:15], s[8:9], v[98:99] op_sel:[0,0,1] op_sel_hi:[1,0,0]
	v_pk_fma_f32 v[98:99], v[14:15], s[8:9], v[98:99] op_sel:[0,0,1] op_sel_hi:[1,0,0] neg_lo:[0,0,1] neg_hi:[0,0,1]
	v_mov_b32_e32 v112, v110
	v_mov_b32_e32 v113, v99
	v_pk_add_f32 v[92:93], v[112:113], v[92:93]
	v_pk_mul_f32 v[112:113], v[18:19], s[18:19] op_sel_hi:[1,0]
	v_pk_mul_f32 v[122:123], v[18:19], s[24:25] op_sel_hi:[1,0]
	v_pk_fma_f32 v[114:115], v[20:21], s[6:7], v[112:113] op_sel:[0,0,1] op_sel_hi:[1,0,0]
	v_pk_fma_f32 v[112:113], v[20:21], s[6:7], v[112:113] op_sel:[0,0,1] op_sel_hi:[1,0,0] neg_lo:[0,0,1] neg_hi:[0,0,1]
	v_mov_b32_e32 v116, v114
	v_mov_b32_e32 v117, v113
	v_pk_add_f32 v[92:93], v[116:117], v[92:93]
	v_pk_mul_f32 v[116:117], v[26:27], s[16:17] op_sel_hi:[1,0]
	v_pk_mul_f32 v[124:125], v[26:27], s[28:29] op_sel_hi:[1,0]
	v_pk_fma_f32 v[118:119], v[30:31], s[14:15], v[116:117] op_sel:[0,0,1] op_sel_hi:[1,0,0]
	v_pk_fma_f32 v[116:117], v[30:31], s[14:15], v[116:117] op_sel:[0,0,1] op_sel_hi:[1,0,0] neg_lo:[0,0,1] neg_hi:[0,0,1]
	v_mov_b32_e32 v120, v118
	v_mov_b32_e32 v121, v117
	v_pk_add_f32 v[92:93], v[120:121], v[92:93]
	ds_write2_b64 v7, v[32:33], v[92:93] offset0:84 offset1:168
	v_pk_mul_f32 v[32:33], v[0:1], s[16:17] op_sel_hi:[1,0]
	v_pk_mul_f32 v[92:93], v[4:5], s[30:31] op_sel_hi:[1,0]
	v_pk_fma_f32 v[126:127], v[2:3], s[14:15], v[32:33] op_sel:[0,0,1] op_sel_hi:[1,0,0]
	v_pk_fma_f32 v[32:33], v[2:3], s[14:15], v[32:33] op_sel:[0,0,1] op_sel_hi:[1,0,0] neg_lo:[0,0,1] neg_hi:[0,0,1]
	v_mov_b32_e32 v128, v126
	v_mov_b32_e32 v129, v33
	v_pk_fma_f32 v[130:131], v[8:9], s[10:11], v[92:93] op_sel:[0,0,1] op_sel_hi:[1,0,0]
	v_pk_fma_f32 v[92:93], v[8:9], s[10:11], v[92:93] op_sel:[0,0,1] op_sel_hi:[1,0,0] neg_lo:[0,0,1] neg_hi:[0,0,1]
	v_pk_mul_f32 v[120:121], v[10:11], s[18:19] op_sel_hi:[1,0]
	v_pk_add_f32 v[128:129], v[40:41], v[128:129]
	v_mov_b32_e32 v132, v130
	v_mov_b32_e32 v133, v93
	v_pk_add_f32 v[128:129], v[132:133], v[128:129]
	v_pk_fma_f32 v[132:133], v[14:15], s[6:7], v[120:121] op_sel:[0,0,1] op_sel_hi:[1,0,0]
	v_pk_fma_f32 v[120:121], v[14:15], s[6:7], v[120:121] op_sel:[0,0,1] op_sel_hi:[1,0,0] neg_lo:[0,0,1] neg_hi:[0,0,1]
	v_mov_b32_e32 v134, v132
	v_mov_b32_e32 v135, v121
	v_pk_add_f32 v[128:129], v[134:135], v[128:129]
	v_pk_fma_f32 v[134:135], v[20:21], s[22:23], v[122:123] op_sel:[0,0,1] op_sel_hi:[1,0,0]
	v_pk_fma_f32 v[122:123], v[20:21], s[22:23], v[122:123] op_sel:[0,0,1] op_sel_hi:[1,0,0] neg_lo:[0,0,1] neg_hi:[0,0,1]
	;; [unrolled: 5-line block ×3, first 2 shown]
	v_mov_b32_e32 v138, v136
	v_mov_b32_e32 v139, v125
	v_pk_mul_f32 v[0:1], v[0:1], s[24:25] op_sel_hi:[1,0]
	v_pk_add_f32 v[128:129], v[138:139], v[128:129]
	v_pk_fma_f32 v[138:139], v[2:3], s[22:23], v[0:1] op_sel:[0,0,1] op_sel_hi:[1,0,0]
	v_pk_fma_f32 v[0:1], v[2:3], s[22:23], v[0:1] op_sel:[0,0,1] op_sel_hi:[1,0,0] neg_lo:[0,0,1] neg_hi:[0,0,1]
	v_pk_mul_f32 v[4:5], v[4:5], s[26:27] op_sel_hi:[1,0]
	v_mov_b32_e32 v2, v138
	v_mov_b32_e32 v3, v1
	v_pk_fma_f32 v[140:141], v[8:9], s[6:7], v[4:5] op_sel:[0,0,1] op_sel_hi:[1,0,0]
	v_pk_fma_f32 v[4:5], v[8:9], s[6:7], v[4:5] op_sel:[0,0,1] op_sel_hi:[1,0,0] neg_lo:[0,0,1] neg_hi:[0,0,1]
	v_pk_add_f32 v[2:3], v[40:41], v[2:3]
	v_mov_b32_e32 v8, v140
	v_mov_b32_e32 v9, v5
	v_pk_add_f32 v[2:3], v[8:9], v[2:3]
	v_pk_mul_f32 v[8:9], v[10:11], s[16:17] op_sel_hi:[1,0]
	v_add_u32_e32 v1, 0x800, v100
	v_pk_fma_f32 v[10:11], v[14:15], s[14:15], v[8:9] op_sel:[0,0,1] op_sel_hi:[1,0,0]
	v_pk_fma_f32 v[8:9], v[14:15], s[14:15], v[8:9] op_sel:[0,0,1] op_sel_hi:[1,0,0] neg_lo:[0,0,1] neg_hi:[0,0,1]
	v_mov_b32_e32 v14, v10
	v_mov_b32_e32 v15, v9
	v_pk_add_f32 v[2:3], v[14:15], v[2:3]
	v_pk_mul_f32 v[14:15], v[18:19], s[28:29] op_sel_hi:[1,0]
	v_mov_b32_e32 v33, v127
	v_pk_fma_f32 v[18:19], v[20:21], s[8:9], v[14:15] op_sel:[0,0,1] op_sel_hi:[1,0,0]
	v_pk_fma_f32 v[14:15], v[20:21], s[8:9], v[14:15] op_sel:[0,0,1] op_sel_hi:[1,0,0] neg_lo:[0,0,1] neg_hi:[0,0,1]
	v_mov_b32_e32 v20, v18
	v_mov_b32_e32 v21, v15
	v_pk_add_f32 v[2:3], v[20:21], v[2:3]
	v_pk_mul_f32 v[20:21], v[26:27], s[12:13] op_sel_hi:[1,0]
	v_mov_b32_e32 v5, v141
	v_pk_fma_f32 v[26:27], v[30:31], s[10:11], v[20:21] op_sel:[0,0,1] op_sel_hi:[1,0,0]
	v_pk_fma_f32 v[20:21], v[30:31], s[10:11], v[20:21] op_sel:[0,0,1] op_sel_hi:[1,0,0] neg_lo:[0,0,1] neg_hi:[0,0,1]
	v_mov_b32_e32 v30, v26
	v_mov_b32_e32 v31, v21
	v_pk_add_f32 v[2:3], v[30:31], v[2:3]
	ds_write2_b64 v1, v[128:129], v[2:3] offset0:124 offset1:208
	v_mov_b32_e32 v1, v139
	v_pk_add_f32 v[0:1], v[40:41], v[0:1]
	v_pk_add_f32 v[2:3], v[40:41], v[32:33]
	v_mov_b32_e32 v93, v131
	v_pk_add_f32 v[0:1], v[4:5], v[0:1]
	v_mov_b32_e32 v9, v11
	;; [unrolled: 2-line block ×7, first 2 shown]
	v_pk_add_f32 v[0:1], v[20:21], v[0:1]
	v_pk_add_f32 v[2:3], v[124:125], v[2:3]
	v_add_u32_e32 v4, 0x1000, v100
	v_mov_b32_e32 v89, v91
	v_mov_b32_e32 v7, v29
	ds_write2_b64 v4, v[0:1], v[2:3] offset0:36 offset1:120
	v_pk_add_f32 v[0:1], v[40:41], v[88:89]
	v_mov_b32_e32 v95, v97
	v_pk_add_f32 v[2:3], v[40:41], v[6:7]
	v_mov_b32_e32 v13, v35
	;; [unrolled: 2-line block ×8, first 2 shown]
	v_pk_add_f32 v[0:1], v[116:117], v[0:1]
	v_pk_add_f32 v[2:3], v[24:25], v[2:3]
	v_add_u32_e32 v4, 0x1400, v100
	v_mov_b32_e32 v37, v49
	ds_write2_b64 v4, v[0:1], v[2:3] offset0:76 offset1:160
	v_pk_add_f32 v[0:1], v[40:41], v[36:37]
	v_mov_b32_e32 v43, v51
	v_pk_add_f32 v[0:1], v[42:43], v[0:1]
	v_mov_b32_e32 v45, v53
	;; [unrolled: 2-line block ×4, first 2 shown]
	v_pk_add_f32 v[0:1], v[58:59], v[0:1]
	ds_write_b64 v100, v[0:1] offset:7072
.LBB0_23:
	s_or_b64 exec, exec, s[36:37]
	s_waitcnt lgkmcnt(0)
	; wave barrier
	s_waitcnt lgkmcnt(0)
	ds_read_b64 v[4:5], v100
	s_add_u32 s4, s4, 0x1cd0
	s_addc_u32 s5, s5, 0
	v_sub_u32_e32 v6, 0, v61
	v_cmp_ne_u32_e64 s[2:3], 0, v60
                                        ; implicit-def: $vgpr2_vgpr3
                                        ; implicit-def: $vgpr1
	s_and_saveexec_b64 s[6:7], s[2:3]
	s_xor_b64 s[2:3], exec, s[6:7]
	s_cbranch_execz .LBB0_25
; %bb.24:
	v_mov_b32_e32 v61, 0
	v_lshl_add_u64 v[0:1], v[60:61], 3, s[4:5]
	global_load_dwordx2 v[2:3], v[0:1], off
	ds_read_b64 v[0:1], v6 offset:7392
	v_mov_b32_e32 v9, 0.5
	v_mov_b32_e32 v10, v9
	s_waitcnt lgkmcnt(0)
	v_pk_add_f32 v[12:13], v[0:1], v[4:5]
	v_pk_add_f32 v[0:1], v[4:5], v[0:1] neg_lo:[0,1] neg_hi:[0,1]
	v_mov_b32_e32 v4, v13
	v_mov_b32_e32 v5, v0
	v_pk_mul_f32 v[4:5], v[4:5], 0.5 op_sel_hi:[1,0]
	s_waitcnt vmcnt(0)
	v_mov_b32_e32 v8, v3
	v_mov_b32_e32 v0, v5
	;; [unrolled: 1-line block ×4, first 2 shown]
	v_pk_mul_f32 v[0:1], v[8:9], v[0:1]
	v_pk_mul_f32 v[14:15], v[2:3], v[4:5] op_sel_hi:[0,1]
	v_pk_fma_f32 v[8:9], v[12:13], v[10:11], v[0:1]
	v_pk_fma_f32 v[10:11], v[12:13], v[10:11], v[0:1] neg_lo:[0,0,1] neg_hi:[0,0,1]
	v_add_f32_e32 v0, v14, v8
	v_sub_f32_e32 v1, v9, v15
	ds_write_b32 v100, v0
	v_pk_fma_f32 v[2:3], v[2:3], v[4:5], v[10:11] op_sel_hi:[0,1,1] neg_lo:[1,0,0] neg_hi:[1,0,0]
                                        ; implicit-def: $vgpr4_vgpr5
.LBB0_25:
	s_or_saveexec_b64 s[2:3], s[2:3]
	v_sub_u32_e32 v7, 0, v65
	s_xor_b64 exec, exec, s[2:3]
	s_cbranch_execz .LBB0_27
; %bb.26:
	s_waitcnt lgkmcnt(0)
	v_mov_b32_e32 v0, v5
	v_pk_add_f32 v[0:1], v[4:5], v[0:1] neg_lo:[0,1] neg_hi:[0,1]
	v_add_f32_e32 v3, v5, v4
	v_mov_b32_e32 v1, 0
	ds_read_b32 v2, v1 offset:3700
	ds_write_b32 v100, v3
	s_waitcnt lgkmcnt(1)
	v_xor_b32_e32 v2, 0x80000000, v2
	ds_write_b32 v1, v2 offset:3700
	v_mov_b64_e32 v[2:3], v[0:1]
.LBB0_27:
	s_or_b64 exec, exec, s[2:3]
	v_mov_b32_e32 v65, 0
	s_waitcnt lgkmcnt(0)
	v_lshl_add_u64 v[4:5], v[64:65], 3, s[4:5]
	global_load_dwordx2 v[4:5], v[4:5], off
	v_mov_b32_e32 v83, v65
	v_lshl_add_u64 v[8:9], v[82:83], 3, s[4:5]
	global_load_dwordx2 v[8:9], v[8:9], off
	v_mov_b32_e32 v81, v65
	;; [unrolled: 3-line block ×3, first 2 shown]
	ds_write_b32 v100, v1 offset:4
	ds_write_b64 v6, v[2:3] offset:7392
	v_lshl_add_u64 v[2:3], v[78:79], 3, s[4:5]
	global_load_dwordx2 v[2:3], v[2:3], off
	v_mov_b32_e32 v77, v65
	v_lshl_add_u64 v[26:27], v[76:77], 3, s[4:5]
	ds_read_b64 v[12:13], v107
	ds_read_b64 v[14:15], v6 offset:7040
	global_load_dwordx2 v[26:27], v[26:27], off
	v_mov_b32_e32 v1, 0.5
	v_mov_b32_e32 v16, v1
	v_mov_b32_e32 v18, v1
	s_waitcnt lgkmcnt(0)
	v_pk_add_f32 v[28:29], v[12:13], v[14:15]
	v_pk_add_f32 v[12:13], v[12:13], v[14:15] neg_lo:[0,1] neg_hi:[0,1]
	v_mov_b32_e32 v14, v29
	v_mov_b32_e32 v15, v12
	v_pk_mul_f32 v[14:15], v[14:15], 0.5 op_sel_hi:[1,0]
	v_mov_b32_e32 v75, v65
	v_mov_b32_e32 v12, v15
	;; [unrolled: 1-line block ×8, first 2 shown]
	v_add_u32_e32 v7, v67, v7
	s_waitcnt vmcnt(4)
	v_mov_b32_e32 v0, v5
	v_mov_b32_e32 v17, v5
	v_pk_mul_f32 v[12:13], v[0:1], v[12:13]
	s_waitcnt vmcnt(3)
	v_mov_b32_e32 v0, v9
	v_pk_fma_f32 v[30:31], v[28:29], v[16:17], v[12:13]
	v_pk_fma_f32 v[12:13], v[28:29], v[16:17], v[12:13] neg_lo:[0,0,1] neg_hi:[0,0,1]
	v_pk_fma_f32 v[16:17], v[4:5], v[14:15], v[30:31]
	v_pk_fma_f32 v[28:29], v[4:5], v[14:15], v[30:31] op_sel_hi:[0,1,1] neg_lo:[1,0,0] neg_hi:[1,0,0]
	v_mov_b32_e32 v17, v29
	v_pk_fma_f32 v[4:5], v[4:5], v[14:15], v[12:13] op_sel_hi:[0,1,1] neg_lo:[1,0,0] neg_hi:[1,0,0]
	ds_write_b64 v107, v[16:17]
	ds_write_b64 v6, v[4:5] offset:7040
	ds_read_b64 v[4:5], v106
	ds_read_b64 v[12:13], v6 offset:6688
	v_mov_b32_e32 v19, v9
	v_lshl_add_u64 v[14:15], v[74:75], 3, s[4:5]
	global_load_dwordx2 v[14:15], v[14:15], off
	s_waitcnt vmcnt(3)
	v_mov_b32_e32 v21, v11
	s_waitcnt lgkmcnt(0)
	v_pk_add_f32 v[16:17], v[4:5], v[12:13]
	v_pk_add_f32 v[4:5], v[4:5], v[12:13] neg_lo:[0,1] neg_hi:[0,1]
	v_mov_b32_e32 v12, v17
	v_mov_b32_e32 v13, v4
	v_pk_mul_f32 v[12:13], v[12:13], 0.5 op_sel_hi:[1,0]
	s_waitcnt vmcnt(2)
	v_mov_b32_e32 v23, v3
	v_mov_b32_e32 v4, v13
	;; [unrolled: 1-line block ×3, first 2 shown]
	v_pk_mul_f32 v[4:5], v[0:1], v[4:5]
	v_mov_b32_e32 v0, v11
	v_pk_fma_f32 v[28:29], v[16:17], v[18:19], v[4:5]
	v_pk_fma_f32 v[4:5], v[16:17], v[18:19], v[4:5] neg_lo:[0,0,1] neg_hi:[0,0,1]
	v_pk_fma_f32 v[16:17], v[8:9], v[12:13], v[28:29]
	v_pk_fma_f32 v[18:19], v[8:9], v[12:13], v[28:29] op_sel_hi:[0,1,1] neg_lo:[1,0,0] neg_hi:[1,0,0]
	v_mov_b32_e32 v17, v19
	v_pk_fma_f32 v[4:5], v[8:9], v[12:13], v[4:5] op_sel_hi:[0,1,1] neg_lo:[1,0,0] neg_hi:[1,0,0]
	ds_write_b64 v106, v[16:17]
	ds_write_b64 v6, v[4:5] offset:6688
	ds_read_b64 v[4:5], v105
	ds_read_b64 v[8:9], v6 offset:6336
	v_lshl_add_u64 v[12:13], v[72:73], 3, s[4:5]
	global_load_dwordx2 v[12:13], v[12:13], off
	s_waitcnt vmcnt(2)
	v_mov_b32_e32 v25, v27
	s_waitcnt lgkmcnt(0)
	v_pk_add_f32 v[16:17], v[4:5], v[8:9]
	v_pk_add_f32 v[4:5], v[4:5], v[8:9] neg_lo:[0,1] neg_hi:[0,1]
	v_mov_b32_e32 v8, v17
	v_mov_b32_e32 v9, v4
	v_pk_mul_f32 v[8:9], v[8:9], 0.5 op_sel_hi:[1,0]
	s_nop 0
	v_mov_b32_e32 v4, v9
	v_mov_b32_e32 v17, v8
	v_pk_mul_f32 v[4:5], v[0:1], v[4:5]
	v_mov_b32_e32 v0, v3
	v_pk_fma_f32 v[18:19], v[16:17], v[20:21], v[4:5]
	v_pk_fma_f32 v[4:5], v[16:17], v[20:21], v[4:5] neg_lo:[0,0,1] neg_hi:[0,0,1]
	v_pk_fma_f32 v[16:17], v[10:11], v[8:9], v[18:19]
	v_pk_fma_f32 v[18:19], v[10:11], v[8:9], v[18:19] op_sel_hi:[0,1,1] neg_lo:[1,0,0] neg_hi:[1,0,0]
	v_mov_b32_e32 v17, v19
	v_pk_fma_f32 v[4:5], v[10:11], v[8:9], v[4:5] op_sel_hi:[0,1,1] neg_lo:[1,0,0] neg_hi:[1,0,0]
	ds_write_b64 v105, v[16:17]
	ds_write_b64 v6, v[4:5] offset:6336
	ds_read_b64 v[4:5], v69
	ds_read_b64 v[8:9], v6 offset:5984
	v_lshl_add_u64 v[10:11], v[70:71], 3, s[4:5]
	global_load_dwordx2 v[10:11], v[10:11], off
	s_waitcnt lgkmcnt(0)
	v_pk_add_f32 v[16:17], v[4:5], v[8:9]
	v_pk_add_f32 v[4:5], v[4:5], v[8:9] neg_lo:[0,1] neg_hi:[0,1]
	v_mov_b32_e32 v8, v17
	v_mov_b32_e32 v9, v4
	v_pk_mul_f32 v[8:9], v[8:9], 0.5 op_sel_hi:[1,0]
	s_nop 0
	v_mov_b32_e32 v4, v9
	v_mov_b32_e32 v17, v8
	v_pk_mul_f32 v[4:5], v[0:1], v[4:5]
	v_mov_b32_e32 v0, v27
	v_pk_fma_f32 v[18:19], v[16:17], v[22:23], v[4:5]
	v_pk_fma_f32 v[4:5], v[16:17], v[22:23], v[4:5] neg_lo:[0,0,1] neg_hi:[0,0,1]
	v_pk_fma_f32 v[16:17], v[2:3], v[8:9], v[18:19]
	v_pk_fma_f32 v[18:19], v[2:3], v[8:9], v[18:19] op_sel_hi:[0,1,1] neg_lo:[1,0,0] neg_hi:[1,0,0]
	v_mov_b32_e32 v17, v19
	v_pk_fma_f32 v[2:3], v[2:3], v[8:9], v[4:5] op_sel_hi:[0,1,1] neg_lo:[1,0,0] neg_hi:[1,0,0]
	ds_write_b64 v69, v[16:17]
	ds_write_b64 v6, v[2:3] offset:5984
	ds_read_b64 v[2:3], v104
	ds_read_b64 v[4:5], v6 offset:5632
	v_mov_b32_e32 v69, v65
	v_lshl_add_u64 v[8:9], v[68:69], 3, s[4:5]
	s_waitcnt lgkmcnt(0)
	v_pk_add_f32 v[16:17], v[2:3], v[4:5]
	v_pk_add_f32 v[2:3], v[2:3], v[4:5] neg_lo:[0,1] neg_hi:[0,1]
	v_mov_b32_e32 v4, v17
	v_mov_b32_e32 v5, v2
	v_pk_mul_f32 v[4:5], v[4:5], 0.5 op_sel_hi:[1,0]
	s_nop 0
	v_mov_b32_e32 v2, v5
	v_mov_b32_e32 v17, v4
	v_pk_mul_f32 v[2:3], v[0:1], v[2:3]
	s_waitcnt vmcnt(2)
	v_mov_b32_e32 v0, v15
	v_pk_fma_f32 v[18:19], v[16:17], v[24:25], v[2:3]
	v_pk_fma_f32 v[2:3], v[16:17], v[24:25], v[2:3] neg_lo:[0,0,1] neg_hi:[0,0,1]
	v_pk_fma_f32 v[16:17], v[26:27], v[4:5], v[18:19]
	v_pk_fma_f32 v[18:19], v[26:27], v[4:5], v[18:19] op_sel_hi:[0,1,1] neg_lo:[1,0,0] neg_hi:[1,0,0]
	v_mov_b32_e32 v17, v19
	v_pk_fma_f32 v[2:3], v[26:27], v[4:5], v[2:3] op_sel_hi:[0,1,1] neg_lo:[1,0,0] neg_hi:[1,0,0]
	ds_write_b64 v104, v[16:17]
	ds_write_b64 v6, v[2:3] offset:5632
	ds_read_b64 v[2:3], v103
	ds_read_b64 v[4:5], v6 offset:5280
	global_load_dwordx2 v[8:9], v[8:9], off
	v_mov_b32_e32 v16, v1
	v_mov_b32_e32 v17, v15
	s_waitcnt lgkmcnt(0)
	v_pk_add_f32 v[18:19], v[2:3], v[4:5]
	v_pk_add_f32 v[2:3], v[2:3], v[4:5] neg_lo:[0,1] neg_hi:[0,1]
	v_mov_b32_e32 v4, v19
	v_mov_b32_e32 v5, v2
	v_pk_mul_f32 v[4:5], v[4:5], 0.5 op_sel_hi:[1,0]
	s_nop 0
	v_mov_b32_e32 v2, v5
	v_mov_b32_e32 v19, v4
	v_pk_mul_f32 v[2:3], v[0:1], v[2:3]
	s_waitcnt vmcnt(2)
	v_mov_b32_e32 v0, v13
	v_pk_fma_f32 v[20:21], v[18:19], v[16:17], v[2:3]
	v_pk_fma_f32 v[2:3], v[18:19], v[16:17], v[2:3] neg_lo:[0,0,1] neg_hi:[0,0,1]
	v_pk_fma_f32 v[16:17], v[14:15], v[4:5], v[20:21]
	v_pk_fma_f32 v[18:19], v[14:15], v[4:5], v[20:21] op_sel_hi:[0,1,1] neg_lo:[1,0,0] neg_hi:[1,0,0]
	v_mov_b32_e32 v17, v19
	v_pk_fma_f32 v[2:3], v[14:15], v[4:5], v[2:3] op_sel_hi:[0,1,1] neg_lo:[1,0,0] neg_hi:[1,0,0]
	ds_write_b64 v103, v[16:17]
	ds_write_b64 v6, v[2:3] offset:5280
	ds_read_b64 v[2:3], v102
	ds_read_b64 v[4:5], v6 offset:4928
	v_mov_b32_e32 v14, v1
	v_mov_b32_e32 v15, v13
	s_waitcnt lgkmcnt(0)
	v_pk_add_f32 v[16:17], v[2:3], v[4:5]
	v_pk_add_f32 v[2:3], v[2:3], v[4:5] neg_lo:[0,1] neg_hi:[0,1]
	v_mov_b32_e32 v4, v17
	v_mov_b32_e32 v5, v2
	v_pk_mul_f32 v[4:5], v[4:5], 0.5 op_sel_hi:[1,0]
	s_nop 0
	v_mov_b32_e32 v2, v5
	v_mov_b32_e32 v17, v4
	v_pk_mul_f32 v[2:3], v[0:1], v[2:3]
	s_waitcnt vmcnt(1)
	v_mov_b32_e32 v0, v11
	v_pk_fma_f32 v[18:19], v[16:17], v[14:15], v[2:3]
	v_pk_fma_f32 v[2:3], v[16:17], v[14:15], v[2:3] neg_lo:[0,0,1] neg_hi:[0,0,1]
	v_pk_fma_f32 v[20:21], v[12:13], v[4:5], v[18:19]
	v_pk_fma_f32 v[18:19], v[12:13], v[4:5], v[18:19] op_sel_hi:[0,1,1] neg_lo:[1,0,0] neg_hi:[1,0,0]
	v_mov_b32_e32 v21, v19
	v_pk_fma_f32 v[2:3], v[12:13], v[4:5], v[2:3] op_sel_hi:[0,1,1] neg_lo:[1,0,0] neg_hi:[1,0,0]
	ds_write_b64 v102, v[20:21]
	ds_write_b64 v6, v[2:3] offset:4928
	ds_read_b64 v[2:3], v7
	ds_read_b64 v[4:5], v6 offset:4576
	v_mov_b32_e32 v15, v11
	s_waitcnt lgkmcnt(0)
	v_pk_add_f32 v[12:13], v[2:3], v[4:5]
	v_pk_add_f32 v[2:3], v[2:3], v[4:5] neg_lo:[0,1] neg_hi:[0,1]
	v_mov_b32_e32 v4, v13
	v_mov_b32_e32 v5, v2
	v_pk_mul_f32 v[4:5], v[4:5], 0.5 op_sel_hi:[1,0]
	s_nop 0
	v_mov_b32_e32 v2, v5
	v_pk_mul_f32 v[2:3], v[0:1], v[2:3]
	v_mov_b32_e32 v13, v4
	v_pk_fma_f32 v[16:17], v[12:13], v[14:15], v[2:3]
	v_pk_fma_f32 v[2:3], v[12:13], v[14:15], v[2:3] neg_lo:[0,0,1] neg_hi:[0,0,1]
	v_pk_fma_f32 v[18:19], v[10:11], v[4:5], v[16:17]
	v_pk_fma_f32 v[16:17], v[10:11], v[4:5], v[16:17] op_sel_hi:[0,1,1] neg_lo:[1,0,0] neg_hi:[1,0,0]
	v_mov_b32_e32 v19, v17
	v_pk_fma_f32 v[2:3], v[10:11], v[4:5], v[2:3] op_sel_hi:[0,1,1] neg_lo:[1,0,0] neg_hi:[1,0,0]
	ds_write_b64 v7, v[18:19]
	ds_write_b64 v6, v[2:3] offset:4576
	ds_read_b64 v[2:3], v108
	ds_read_b64 v[4:5], v6 offset:4224
	v_mov_b32_e32 v12, v1
	s_waitcnt lgkmcnt(0)
	v_pk_add_f32 v[10:11], v[2:3], v[4:5]
	v_pk_add_f32 v[2:3], v[2:3], v[4:5] neg_lo:[0,1] neg_hi:[0,1]
	v_mov_b32_e32 v4, v11
	v_mov_b32_e32 v5, v2
	v_pk_mul_f32 v[4:5], v[4:5], 0.5 op_sel_hi:[1,0]
	s_waitcnt vmcnt(0)
	v_mov_b32_e32 v0, v9
	v_mov_b32_e32 v2, v5
	v_pk_mul_f32 v[2:3], v[0:1], v[2:3]
	v_mov_b32_e32 v11, v4
	v_mov_b32_e32 v13, v9
	v_pk_fma_f32 v[14:15], v[10:11], v[12:13], v[2:3]
	v_pk_fma_f32 v[2:3], v[10:11], v[12:13], v[2:3] neg_lo:[0,0,1] neg_hi:[0,0,1]
	v_pk_fma_f32 v[16:17], v[8:9], v[4:5], v[14:15]
	v_pk_fma_f32 v[14:15], v[8:9], v[4:5], v[14:15] op_sel_hi:[0,1,1] neg_lo:[1,0,0] neg_hi:[1,0,0]
	v_mov_b32_e32 v17, v15
	v_pk_fma_f32 v[2:3], v[8:9], v[4:5], v[2:3] op_sel_hi:[0,1,1] neg_lo:[1,0,0] neg_hi:[1,0,0]
	ds_write_b64 v108, v[16:17]
	ds_write_b64 v6, v[2:3] offset:4224
	s_and_saveexec_b64 s[2:3], s[0:1]
	s_cbranch_execz .LBB0_29
; %bb.28:
	v_mov_b32_e32 v67, v65
	v_lshl_add_u64 v[2:3], v[66:67], 3, s[4:5]
	global_load_dwordx2 v[2:3], v[2:3], off
	ds_read_b64 v[4:5], v101
	ds_read_b64 v[8:9], v6 offset:3872
	v_mov_b32_e32 v10, v1
	s_waitcnt lgkmcnt(0)
	v_pk_add_f32 v[12:13], v[4:5], v[8:9]
	v_pk_add_f32 v[4:5], v[4:5], v[8:9] neg_lo:[0,1] neg_hi:[0,1]
	v_mov_b32_e32 v8, v13
	v_mov_b32_e32 v9, v4
	v_pk_mul_f32 v[8:9], v[8:9], 0.5 op_sel_hi:[1,0]
	s_waitcnt vmcnt(0)
	v_mov_b32_e32 v0, v3
	v_mov_b32_e32 v4, v9
	;; [unrolled: 1-line block ×4, first 2 shown]
	v_pk_mul_f32 v[0:1], v[0:1], v[4:5]
	s_nop 0
	v_pk_fma_f32 v[4:5], v[12:13], v[10:11], v[0:1]
	v_pk_fma_f32 v[0:1], v[12:13], v[10:11], v[0:1] neg_lo:[0,0,1] neg_hi:[0,0,1]
	v_pk_fma_f32 v[10:11], v[2:3], v[8:9], v[4:5]
	v_pk_fma_f32 v[4:5], v[2:3], v[8:9], v[4:5] op_sel_hi:[0,1,1] neg_lo:[1,0,0] neg_hi:[1,0,0]
	v_mov_b32_e32 v11, v5
	v_pk_fma_f32 v[0:1], v[2:3], v[8:9], v[0:1] op_sel_hi:[0,1,1] neg_lo:[1,0,0] neg_hi:[1,0,0]
	ds_write_b64 v101, v[10:11]
	ds_write_b64 v6, v[0:1] offset:3872
.LBB0_29:
	s_or_b64 exec, exec, s[2:3]
	s_waitcnt lgkmcnt(0)
	; wave barrier
	s_waitcnt lgkmcnt(0)
	s_and_saveexec_b64 s[0:1], vcc
	s_cbranch_execz .LBB0_32
; %bb.30:
	ds_read2_b64 v[0:3], v100 offset1:44
	ds_read2_b64 v[4:7], v100 offset0:88 offset1:132
	v_mov_b32_e32 v61, 0
	v_lshl_add_u64 v[12:13], v[60:61], 3, v[62:63]
	v_add_u32_e32 v14, 0x800, v100
	s_waitcnt lgkmcnt(1)
	global_store_dwordx2 v[12:13], v[0:1], off
	global_store_dwordx2 v[12:13], v[2:3], off offset:352
	ds_read2_b64 v[0:3], v100 offset0:176 offset1:220
	s_waitcnt lgkmcnt(1)
	global_store_dwordx2 v[12:13], v[4:5], off offset:704
	global_store_dwordx2 v[12:13], v[6:7], off offset:1056
	ds_read2_b64 v[4:7], v14 offset0:8 offset1:52
	ds_read2_b64 v[8:11], v14 offset0:96 offset1:140
	s_movk_i32 s0, 0x1000
	s_waitcnt lgkmcnt(2)
	global_store_dwordx2 v[12:13], v[0:1], off offset:1408
	global_store_dwordx2 v[12:13], v[2:3], off offset:1760
	ds_read2_b64 v[0:3], v14 offset0:184 offset1:228
	s_waitcnt lgkmcnt(2)
	global_store_dwordx2 v[12:13], v[4:5], off offset:2112
	global_store_dwordx2 v[12:13], v[6:7], off offset:2464
	s_waitcnt lgkmcnt(1)
	global_store_dwordx2 v[12:13], v[8:9], off offset:2816
	global_store_dwordx2 v[12:13], v[10:11], off offset:3168
	;; [unrolled: 3-line block ×3, first 2 shown]
	v_add_u32_e32 v14, 0x1000, v100
	ds_read2_b64 v[0:3], v14 offset0:16 offset1:60
	ds_read2_b64 v[4:7], v14 offset0:104 offset1:148
	v_add_co_u32_e32 v8, vcc, s0, v12
	v_or_b32_e32 v10, 0x2c0, v60
	s_nop 0
	v_addc_co_u32_e32 v9, vcc, 0, v13, vcc
	s_waitcnt lgkmcnt(1)
	global_store_dwordx2 v[8:9], v[0:1], off offset:128
	global_store_dwordx2 v[8:9], v[2:3], off offset:480
	s_waitcnt lgkmcnt(0)
	global_store_dwordx2 v[8:9], v[4:5], off offset:832
	global_store_dwordx2 v[8:9], v[6:7], off offset:1184
	ds_read2_b64 v[0:3], v14 offset0:192 offset1:236
	v_add_u32_e32 v4, 0x1800, v100
	ds_read2_b64 v[4:7], v4 offset0:24 offset1:68
	v_mov_b32_e32 v11, v61
	v_lshl_add_u64 v[10:11], v[10:11], 3, v[62:63]
	ds_read_b64 v[12:13], v100 offset:7040
	v_cmp_eq_u32_e32 vcc, 43, v60
	s_waitcnt lgkmcnt(2)
	global_store_dwordx2 v[10:11], v[0:1], off
	global_store_dwordx2 v[8:9], v[2:3], off offset:1888
	s_waitcnt lgkmcnt(1)
	global_store_dwordx2 v[8:9], v[4:5], off offset:2240
	global_store_dwordx2 v[8:9], v[6:7], off offset:2592
	s_waitcnt lgkmcnt(0)
	global_store_dwordx2 v[8:9], v[12:13], off offset:2944
	s_and_b64 exec, exec, vcc
	s_cbranch_execz .LBB0_32
; %bb.31:
	ds_read_b64 v[0:1], v61 offset:7392
	v_add_co_u32_e32 v2, vcc, 0x1000, v62
	s_nop 1
	v_addc_co_u32_e32 v3, vcc, 0, v63, vcc
	s_waitcnt lgkmcnt(0)
	global_store_dwordx2 v[2:3], v[0:1], off offset:3296
.LBB0_32:
	s_endpgm
	.section	.rodata,"a",@progbits
	.p2align	6, 0x0
	.amdhsa_kernel fft_rtc_back_len924_factors_2_2_3_7_11_wgs_44_tpt_44_halfLds_sp_ip_CI_unitstride_sbrr_R2C_dirReg
		.amdhsa_group_segment_fixed_size 0
		.amdhsa_private_segment_fixed_size 0
		.amdhsa_kernarg_size 88
		.amdhsa_user_sgpr_count 2
		.amdhsa_user_sgpr_dispatch_ptr 0
		.amdhsa_user_sgpr_queue_ptr 0
		.amdhsa_user_sgpr_kernarg_segment_ptr 1
		.amdhsa_user_sgpr_dispatch_id 0
		.amdhsa_user_sgpr_kernarg_preload_length 0
		.amdhsa_user_sgpr_kernarg_preload_offset 0
		.amdhsa_user_sgpr_private_segment_size 0
		.amdhsa_uses_dynamic_stack 0
		.amdhsa_enable_private_segment 0
		.amdhsa_system_sgpr_workgroup_id_x 1
		.amdhsa_system_sgpr_workgroup_id_y 0
		.amdhsa_system_sgpr_workgroup_id_z 0
		.amdhsa_system_sgpr_workgroup_info 0
		.amdhsa_system_vgpr_workitem_id 0
		.amdhsa_next_free_vgpr 176
		.amdhsa_next_free_sgpr 38
		.amdhsa_accum_offset 176
		.amdhsa_reserve_vcc 1
		.amdhsa_float_round_mode_32 0
		.amdhsa_float_round_mode_16_64 0
		.amdhsa_float_denorm_mode_32 3
		.amdhsa_float_denorm_mode_16_64 3
		.amdhsa_dx10_clamp 1
		.amdhsa_ieee_mode 1
		.amdhsa_fp16_overflow 0
		.amdhsa_tg_split 0
		.amdhsa_exception_fp_ieee_invalid_op 0
		.amdhsa_exception_fp_denorm_src 0
		.amdhsa_exception_fp_ieee_div_zero 0
		.amdhsa_exception_fp_ieee_overflow 0
		.amdhsa_exception_fp_ieee_underflow 0
		.amdhsa_exception_fp_ieee_inexact 0
		.amdhsa_exception_int_div_zero 0
	.end_amdhsa_kernel
	.text
.Lfunc_end0:
	.size	fft_rtc_back_len924_factors_2_2_3_7_11_wgs_44_tpt_44_halfLds_sp_ip_CI_unitstride_sbrr_R2C_dirReg, .Lfunc_end0-fft_rtc_back_len924_factors_2_2_3_7_11_wgs_44_tpt_44_halfLds_sp_ip_CI_unitstride_sbrr_R2C_dirReg
                                        ; -- End function
	.section	.AMDGPU.csdata,"",@progbits
; Kernel info:
; codeLenInByte = 14360
; NumSgprs: 44
; NumVgprs: 176
; NumAgprs: 0
; TotalNumVgprs: 176
; ScratchSize: 0
; MemoryBound: 0
; FloatMode: 240
; IeeeMode: 1
; LDSByteSize: 0 bytes/workgroup (compile time only)
; SGPRBlocks: 5
; VGPRBlocks: 21
; NumSGPRsForWavesPerEU: 44
; NumVGPRsForWavesPerEU: 176
; AccumOffset: 176
; Occupancy: 2
; WaveLimiterHint : 1
; COMPUTE_PGM_RSRC2:SCRATCH_EN: 0
; COMPUTE_PGM_RSRC2:USER_SGPR: 2
; COMPUTE_PGM_RSRC2:TRAP_HANDLER: 0
; COMPUTE_PGM_RSRC2:TGID_X_EN: 1
; COMPUTE_PGM_RSRC2:TGID_Y_EN: 0
; COMPUTE_PGM_RSRC2:TGID_Z_EN: 0
; COMPUTE_PGM_RSRC2:TIDIG_COMP_CNT: 0
; COMPUTE_PGM_RSRC3_GFX90A:ACCUM_OFFSET: 43
; COMPUTE_PGM_RSRC3_GFX90A:TG_SPLIT: 0
	.text
	.p2alignl 6, 3212836864
	.fill 256, 4, 3212836864
	.type	__hip_cuid_e927b22ad197eac5,@object ; @__hip_cuid_e927b22ad197eac5
	.section	.bss,"aw",@nobits
	.globl	__hip_cuid_e927b22ad197eac5
__hip_cuid_e927b22ad197eac5:
	.byte	0                               ; 0x0
	.size	__hip_cuid_e927b22ad197eac5, 1

	.ident	"AMD clang version 19.0.0git (https://github.com/RadeonOpenCompute/llvm-project roc-6.4.0 25133 c7fe45cf4b819c5991fe208aaa96edf142730f1d)"
	.section	".note.GNU-stack","",@progbits
	.addrsig
	.addrsig_sym __hip_cuid_e927b22ad197eac5
	.amdgpu_metadata
---
amdhsa.kernels:
  - .agpr_count:     0
    .args:
      - .actual_access:  read_only
        .address_space:  global
        .offset:         0
        .size:           8
        .value_kind:     global_buffer
      - .offset:         8
        .size:           8
        .value_kind:     by_value
      - .actual_access:  read_only
        .address_space:  global
        .offset:         16
        .size:           8
        .value_kind:     global_buffer
      - .actual_access:  read_only
        .address_space:  global
        .offset:         24
        .size:           8
        .value_kind:     global_buffer
      - .offset:         32
        .size:           8
        .value_kind:     by_value
      - .actual_access:  read_only
        .address_space:  global
        .offset:         40
        .size:           8
        .value_kind:     global_buffer
      - .actual_access:  read_only
        .address_space:  global
        .offset:         48
        .size:           8
        .value_kind:     global_buffer
      - .offset:         56
        .size:           4
        .value_kind:     by_value
      - .actual_access:  read_only
        .address_space:  global
        .offset:         64
        .size:           8
        .value_kind:     global_buffer
      - .actual_access:  read_only
        .address_space:  global
        .offset:         72
        .size:           8
        .value_kind:     global_buffer
      - .address_space:  global
        .offset:         80
        .size:           8
        .value_kind:     global_buffer
    .group_segment_fixed_size: 0
    .kernarg_segment_align: 8
    .kernarg_segment_size: 88
    .language:       OpenCL C
    .language_version:
      - 2
      - 0
    .max_flat_workgroup_size: 44
    .name:           fft_rtc_back_len924_factors_2_2_3_7_11_wgs_44_tpt_44_halfLds_sp_ip_CI_unitstride_sbrr_R2C_dirReg
    .private_segment_fixed_size: 0
    .sgpr_count:     44
    .sgpr_spill_count: 0
    .symbol:         fft_rtc_back_len924_factors_2_2_3_7_11_wgs_44_tpt_44_halfLds_sp_ip_CI_unitstride_sbrr_R2C_dirReg.kd
    .uniform_work_group_size: 1
    .uses_dynamic_stack: false
    .vgpr_count:     176
    .vgpr_spill_count: 0
    .wavefront_size: 64
amdhsa.target:   amdgcn-amd-amdhsa--gfx950
amdhsa.version:
  - 1
  - 2
...

	.end_amdgpu_metadata
